;; amdgpu-corpus repo=ROCm/rocFFT kind=compiled arch=gfx906 opt=O3
	.text
	.amdgcn_target "amdgcn-amd-amdhsa--gfx906"
	.amdhsa_code_object_version 6
	.protected	fft_rtc_fwd_len1183_factors_7_13_13_wgs_182_tpt_91_halfLds_dp_op_CI_CI_unitstride_sbrr_dirReg ; -- Begin function fft_rtc_fwd_len1183_factors_7_13_13_wgs_182_tpt_91_halfLds_dp_op_CI_CI_unitstride_sbrr_dirReg
	.globl	fft_rtc_fwd_len1183_factors_7_13_13_wgs_182_tpt_91_halfLds_dp_op_CI_CI_unitstride_sbrr_dirReg
	.p2align	8
	.type	fft_rtc_fwd_len1183_factors_7_13_13_wgs_182_tpt_91_halfLds_dp_op_CI_CI_unitstride_sbrr_dirReg,@function
fft_rtc_fwd_len1183_factors_7_13_13_wgs_182_tpt_91_halfLds_dp_op_CI_CI_unitstride_sbrr_dirReg: ; @fft_rtc_fwd_len1183_factors_7_13_13_wgs_182_tpt_91_halfLds_dp_op_CI_CI_unitstride_sbrr_dirReg
; %bb.0:
	s_load_dwordx4 s[8:11], s[4:5], 0x58
	s_load_dwordx4 s[12:15], s[4:5], 0x0
	;; [unrolled: 1-line block ×3, first 2 shown]
	v_mul_u32_u24_e32 v1, 0x2d1, v0
	v_lshrrev_b32_e32 v65, 16, v1
	v_mov_b32_e32 v1, 0
	s_waitcnt lgkmcnt(0)
	v_cmp_lt_u64_e64 s[0:1], s[14:15], 2
	v_mov_b32_e32 v4, 0
	v_lshl_add_u32 v6, s6, 1, v65
	v_mov_b32_e32 v7, v1
	s_and_b64 vcc, exec, s[0:1]
	v_mov_b32_e32 v5, 0
	s_cbranch_vccnz .LBB0_8
; %bb.1:
	s_load_dwordx2 s[0:1], s[4:5], 0x10
	s_add_u32 s2, s18, 8
	s_addc_u32 s3, s19, 0
	s_add_u32 s6, s16, 8
	v_mov_b32_e32 v4, 0
	s_addc_u32 s7, s17, 0
	v_mov_b32_e32 v5, 0
	s_waitcnt lgkmcnt(0)
	s_add_u32 s20, s0, 8
	v_mov_b32_e32 v59, v5
	s_addc_u32 s21, s1, 0
	s_mov_b64 s[22:23], 1
	v_mov_b32_e32 v58, v4
.LBB0_2:                                ; =>This Inner Loop Header: Depth=1
	s_load_dwordx2 s[24:25], s[20:21], 0x0
                                        ; implicit-def: $vgpr60_vgpr61
	s_waitcnt lgkmcnt(0)
	v_or_b32_e32 v2, s25, v7
	v_cmp_ne_u64_e32 vcc, 0, v[1:2]
	s_and_saveexec_b64 s[0:1], vcc
	s_xor_b64 s[26:27], exec, s[0:1]
	s_cbranch_execz .LBB0_4
; %bb.3:                                ;   in Loop: Header=BB0_2 Depth=1
	v_cvt_f32_u32_e32 v2, s24
	v_cvt_f32_u32_e32 v3, s25
	s_sub_u32 s0, 0, s24
	s_subb_u32 s1, 0, s25
	v_mac_f32_e32 v2, 0x4f800000, v3
	v_rcp_f32_e32 v2, v2
	v_mul_f32_e32 v2, 0x5f7ffffc, v2
	v_mul_f32_e32 v3, 0x2f800000, v2
	v_trunc_f32_e32 v3, v3
	v_mac_f32_e32 v2, 0xcf800000, v3
	v_cvt_u32_f32_e32 v3, v3
	v_cvt_u32_f32_e32 v2, v2
	v_mul_lo_u32 v8, s0, v3
	v_mul_hi_u32 v9, s0, v2
	v_mul_lo_u32 v11, s1, v2
	v_mul_lo_u32 v10, s0, v2
	v_add_u32_e32 v8, v9, v8
	v_add_u32_e32 v8, v8, v11
	v_mul_hi_u32 v9, v2, v10
	v_mul_lo_u32 v11, v2, v8
	v_mul_hi_u32 v13, v2, v8
	v_mul_hi_u32 v12, v3, v10
	v_mul_lo_u32 v10, v3, v10
	v_mul_hi_u32 v14, v3, v8
	v_add_co_u32_e32 v9, vcc, v9, v11
	v_addc_co_u32_e32 v11, vcc, 0, v13, vcc
	v_mul_lo_u32 v8, v3, v8
	v_add_co_u32_e32 v9, vcc, v9, v10
	v_addc_co_u32_e32 v9, vcc, v11, v12, vcc
	v_addc_co_u32_e32 v10, vcc, 0, v14, vcc
	v_add_co_u32_e32 v8, vcc, v9, v8
	v_addc_co_u32_e32 v9, vcc, 0, v10, vcc
	v_add_co_u32_e32 v2, vcc, v2, v8
	v_addc_co_u32_e32 v3, vcc, v3, v9, vcc
	v_mul_lo_u32 v8, s0, v3
	v_mul_hi_u32 v9, s0, v2
	v_mul_lo_u32 v10, s1, v2
	v_mul_lo_u32 v11, s0, v2
	v_add_u32_e32 v8, v9, v8
	v_add_u32_e32 v8, v8, v10
	v_mul_lo_u32 v12, v2, v8
	v_mul_hi_u32 v13, v2, v11
	v_mul_hi_u32 v14, v2, v8
	;; [unrolled: 1-line block ×3, first 2 shown]
	v_mul_lo_u32 v11, v3, v11
	v_mul_hi_u32 v9, v3, v8
	v_add_co_u32_e32 v12, vcc, v13, v12
	v_addc_co_u32_e32 v13, vcc, 0, v14, vcc
	v_mul_lo_u32 v8, v3, v8
	v_add_co_u32_e32 v11, vcc, v12, v11
	v_addc_co_u32_e32 v10, vcc, v13, v10, vcc
	v_addc_co_u32_e32 v9, vcc, 0, v9, vcc
	v_add_co_u32_e32 v8, vcc, v10, v8
	v_addc_co_u32_e32 v9, vcc, 0, v9, vcc
	v_add_co_u32_e32 v8, vcc, v2, v8
	v_addc_co_u32_e32 v9, vcc, v3, v9, vcc
	v_mad_u64_u32 v[2:3], s[0:1], v6, v9, 0
	v_mul_hi_u32 v10, v6, v8
	v_add_co_u32_e32 v10, vcc, v10, v2
	v_addc_co_u32_e32 v11, vcc, 0, v3, vcc
	v_mad_u64_u32 v[2:3], s[0:1], v7, v8, 0
	v_mad_u64_u32 v[8:9], s[0:1], v7, v9, 0
	v_add_co_u32_e32 v2, vcc, v10, v2
	v_addc_co_u32_e32 v2, vcc, v11, v3, vcc
	v_addc_co_u32_e32 v3, vcc, 0, v9, vcc
	v_add_co_u32_e32 v8, vcc, v2, v8
	v_addc_co_u32_e32 v9, vcc, 0, v3, vcc
	v_mul_lo_u32 v10, s25, v8
	v_mul_lo_u32 v11, s24, v9
	v_mad_u64_u32 v[2:3], s[0:1], s24, v8, 0
	v_add3_u32 v3, v3, v11, v10
	v_sub_u32_e32 v10, v7, v3
	v_mov_b32_e32 v11, s25
	v_sub_co_u32_e32 v2, vcc, v6, v2
	v_subb_co_u32_e64 v10, s[0:1], v10, v11, vcc
	v_subrev_co_u32_e64 v11, s[0:1], s24, v2
	v_subbrev_co_u32_e64 v10, s[0:1], 0, v10, s[0:1]
	v_cmp_le_u32_e64 s[0:1], s25, v10
	v_cndmask_b32_e64 v12, 0, -1, s[0:1]
	v_cmp_le_u32_e64 s[0:1], s24, v11
	v_cndmask_b32_e64 v11, 0, -1, s[0:1]
	v_cmp_eq_u32_e64 s[0:1], s25, v10
	v_cndmask_b32_e64 v10, v12, v11, s[0:1]
	v_add_co_u32_e64 v11, s[0:1], 2, v8
	v_addc_co_u32_e64 v12, s[0:1], 0, v9, s[0:1]
	v_add_co_u32_e64 v13, s[0:1], 1, v8
	v_addc_co_u32_e64 v14, s[0:1], 0, v9, s[0:1]
	v_subb_co_u32_e32 v3, vcc, v7, v3, vcc
	v_cmp_ne_u32_e64 s[0:1], 0, v10
	v_cmp_le_u32_e32 vcc, s25, v3
	v_cndmask_b32_e64 v10, v14, v12, s[0:1]
	v_cndmask_b32_e64 v12, 0, -1, vcc
	v_cmp_le_u32_e32 vcc, s24, v2
	v_cndmask_b32_e64 v2, 0, -1, vcc
	v_cmp_eq_u32_e32 vcc, s25, v3
	v_cndmask_b32_e32 v2, v12, v2, vcc
	v_cmp_ne_u32_e32 vcc, 0, v2
	v_cndmask_b32_e64 v2, v13, v11, s[0:1]
	v_cndmask_b32_e32 v61, v9, v10, vcc
	v_cndmask_b32_e32 v60, v8, v2, vcc
.LBB0_4:                                ;   in Loop: Header=BB0_2 Depth=1
	s_andn2_saveexec_b64 s[0:1], s[26:27]
	s_cbranch_execz .LBB0_6
; %bb.5:                                ;   in Loop: Header=BB0_2 Depth=1
	v_cvt_f32_u32_e32 v2, s24
	s_sub_i32 s26, 0, s24
	v_mov_b32_e32 v61, v1
	v_rcp_iflag_f32_e32 v2, v2
	v_mul_f32_e32 v2, 0x4f7ffffe, v2
	v_cvt_u32_f32_e32 v2, v2
	v_mul_lo_u32 v3, s26, v2
	v_mul_hi_u32 v3, v2, v3
	v_add_u32_e32 v2, v2, v3
	v_mul_hi_u32 v2, v6, v2
	v_mul_lo_u32 v3, v2, s24
	v_add_u32_e32 v8, 1, v2
	v_sub_u32_e32 v3, v6, v3
	v_subrev_u32_e32 v9, s24, v3
	v_cmp_le_u32_e32 vcc, s24, v3
	v_cndmask_b32_e32 v3, v3, v9, vcc
	v_cndmask_b32_e32 v2, v2, v8, vcc
	v_add_u32_e32 v8, 1, v2
	v_cmp_le_u32_e32 vcc, s24, v3
	v_cndmask_b32_e32 v60, v2, v8, vcc
.LBB0_6:                                ;   in Loop: Header=BB0_2 Depth=1
	s_or_b64 exec, exec, s[0:1]
	v_mul_lo_u32 v8, v61, s24
	v_mul_lo_u32 v9, v60, s25
	v_mad_u64_u32 v[2:3], s[0:1], v60, s24, 0
	s_load_dwordx2 s[0:1], s[6:7], 0x0
	s_load_dwordx2 s[24:25], s[2:3], 0x0
	v_add3_u32 v3, v3, v9, v8
	v_sub_co_u32_e32 v2, vcc, v6, v2
	v_subb_co_u32_e32 v3, vcc, v7, v3, vcc
	s_waitcnt lgkmcnt(0)
	v_mul_lo_u32 v6, s0, v3
	v_mul_lo_u32 v7, s1, v2
	v_mad_u64_u32 v[4:5], s[0:1], s0, v2, v[4:5]
	v_mul_lo_u32 v3, s24, v3
	v_mul_lo_u32 v8, s25, v2
	v_mad_u64_u32 v[58:59], s[0:1], s24, v2, v[58:59]
	s_add_u32 s22, s22, 1
	s_addc_u32 s23, s23, 0
	s_add_u32 s2, s2, 8
	v_add3_u32 v59, v8, v59, v3
	s_addc_u32 s3, s3, 0
	v_mov_b32_e32 v2, s14
	s_add_u32 s6, s6, 8
	v_mov_b32_e32 v3, s15
	s_addc_u32 s7, s7, 0
	v_cmp_ge_u64_e32 vcc, s[22:23], v[2:3]
	s_add_u32 s20, s20, 8
	v_add3_u32 v5, v7, v5, v6
	s_addc_u32 s21, s21, 0
	s_cbranch_vccnz .LBB0_9
; %bb.7:                                ;   in Loop: Header=BB0_2 Depth=1
	v_mov_b32_e32 v6, v60
	v_mov_b32_e32 v7, v61
	s_branch .LBB0_2
.LBB0_8:
	v_mov_b32_e32 v59, v5
	v_mov_b32_e32 v61, v7
	;; [unrolled: 1-line block ×4, first 2 shown]
.LBB0_9:
	s_load_dwordx2 s[4:5], s[4:5], 0x28
	s_lshl_b64 s[6:7], s[14:15], 3
	s_add_u32 s2, s18, s6
	s_addc_u32 s3, s19, s7
                                        ; implicit-def: $sgpr14
                                        ; implicit-def: $vgpr64
	s_waitcnt lgkmcnt(0)
	v_cmp_gt_u64_e64 s[0:1], s[4:5], v[60:61]
	v_cmp_le_u64_e32 vcc, s[4:5], v[60:61]
	s_and_saveexec_b64 s[4:5], vcc
	s_xor_b64 s[4:5], exec, s[4:5]
; %bb.10:
	s_mov_b32 s14, 0x2d02d03
	v_mul_hi_u32 v1, v0, s14
	s_mov_b32 s14, 0
                                        ; implicit-def: $vgpr4_vgpr5
	v_mul_u32_u24_e32 v1, 0x5b, v1
	v_sub_u32_e32 v64, v0, v1
                                        ; implicit-def: $vgpr0
; %bb.11:
	s_or_saveexec_b64 s[4:5], s[4:5]
	s_load_dwordx2 s[2:3], s[2:3], 0x0
	v_mov_b32_e32 v62, s14
                                        ; implicit-def: $vgpr48_vgpr49
                                        ; implicit-def: $vgpr44_vgpr45
                                        ; implicit-def: $vgpr40_vgpr41
                                        ; implicit-def: $vgpr36_vgpr37
                                        ; implicit-def: $vgpr32_vgpr33
                                        ; implicit-def: $vgpr28_vgpr29
                                        ; implicit-def: $vgpr24_vgpr25
                                        ; implicit-def: $vgpr56_vgpr57
                                        ; implicit-def: $vgpr52_vgpr53
                                        ; implicit-def: $vgpr18_vgpr19
                                        ; implicit-def: $vgpr14_vgpr15
                                        ; implicit-def: $vgpr10_vgpr11
                                        ; implicit-def: $vgpr6_vgpr7
                                        ; implicit-def: $vgpr2_vgpr3
	s_xor_b64 exec, exec, s[4:5]
	s_cbranch_execz .LBB0_15
; %bb.12:
	s_add_u32 s6, s16, s6
	s_addc_u32 s7, s17, s7
	s_load_dwordx2 s[6:7], s[6:7], 0x0
	s_mov_b32 s14, 0x2d02d03
	v_mul_hi_u32 v3, v0, s14
                                        ; implicit-def: $vgpr22_vgpr23
                                        ; implicit-def: $vgpr26_vgpr27
                                        ; implicit-def: $vgpr30_vgpr31
                                        ; implicit-def: $vgpr34_vgpr35
                                        ; implicit-def: $vgpr38_vgpr39
                                        ; implicit-def: $vgpr42_vgpr43
                                        ; implicit-def: $vgpr46_vgpr47
	s_waitcnt lgkmcnt(0)
	v_mul_lo_u32 v6, s7, v60
	v_mul_lo_u32 v7, s6, v61
	v_mad_u64_u32 v[1:2], s[6:7], s6, v60, 0
	v_mul_u32_u24_e32 v3, 0x5b, v3
	v_sub_u32_e32 v64, v0, v3
	v_add3_u32 v2, v2, v7, v6
	v_lshlrev_b64 v[0:1], 4, v[1:2]
	v_mov_b32_e32 v2, s9
	v_add_co_u32_e32 v3, vcc, s8, v0
	v_addc_co_u32_e32 v2, vcc, v2, v1, vcc
	v_lshlrev_b64 v[0:1], 4, v[4:5]
	s_movk_i32 s6, 0x1000
	v_add_co_u32_e32 v0, vcc, v3, v0
	v_addc_co_u32_e32 v1, vcc, v2, v1, vcc
	v_lshlrev_b32_e32 v2, 4, v64
	v_add_co_u32_e32 v20, vcc, v0, v2
	v_addc_co_u32_e32 v21, vcc, 0, v1, vcc
	v_add_co_u32_e32 v16, vcc, s6, v20
	v_addc_co_u32_e32 v17, vcc, 0, v21, vcc
	s_movk_i32 s6, 0x2000
	v_add_co_u32_e32 v48, vcc, s6, v20
	v_addc_co_u32_e32 v49, vcc, 0, v21, vcc
	s_movk_i32 s6, 0x3000
	v_add_co_u32_e32 v62, vcc, s6, v20
	global_load_dwordx4 v[0:3], v[20:21], off
	global_load_dwordx4 v[4:7], v[20:21], off offset:2704
	global_load_dwordx4 v[8:11], v[16:17], off offset:1312
	;; [unrolled: 1-line block ×3, first 2 shown]
	v_addc_co_u32_e32 v63, vcc, 0, v21, vcc
	global_load_dwordx4 v[16:19], v[48:49], off offset:2624
	global_load_dwordx4 v[50:53], v[62:63], off offset:1232
	;; [unrolled: 1-line block ×3, first 2 shown]
	s_movk_i32 s6, 0x4e
	v_cmp_gt_u32_e32 vcc, s6, v64
	s_and_saveexec_b64 s[6:7], vcc
	s_cbranch_execz .LBB0_14
; %bb.13:
	v_add_co_u32_e32 v46, vcc, 0x1000, v20
	v_addc_co_u32_e32 v47, vcc, 0, v21, vcc
	global_load_dwordx4 v[26:29], v[46:47], off offset:64
	global_load_dwordx4 v[30:33], v[46:47], off offset:2768
	;; [unrolled: 1-line block ×6, first 2 shown]
	v_add_co_u32_e32 v20, vcc, 0x4000, v20
	v_addc_co_u32_e32 v21, vcc, 0, v21, vcc
	global_load_dwordx4 v[46:49], v[20:21], off offset:1296
.LBB0_14:
	s_or_b64 exec, exec, s[6:7]
	v_mov_b32_e32 v62, v64
.LBB0_15:
	s_or_b64 exec, exec, s[4:5]
	s_waitcnt vmcnt(0)
	v_add_f64 v[20:21], v[54:55], v[4:5]
	v_add_f64 v[66:67], v[50:51], v[8:9]
	v_add_f64 v[70:71], v[10:11], -v[52:53]
	v_add_f64 v[72:73], v[16:17], v[12:13]
	v_add_f64 v[74:75], v[18:19], -v[14:15]
	v_add_f64 v[68:69], v[6:7], -v[56:57]
	s_mov_b32 s4, 0x37e14327
	s_mov_b32 s6, 0x36b3c0b5
	;; [unrolled: 1-line block ×3, first 2 shown]
	v_add_f64 v[76:77], v[66:67], v[20:21]
	s_mov_b32 s5, 0x3fe948f6
	v_add_f64 v[78:79], v[20:21], -v[72:73]
	v_add_f64 v[82:83], v[74:75], -v[70:71]
	v_add_f64 v[80:81], v[74:75], v[70:71]
	v_add_f64 v[70:71], v[70:71], -v[68:69]
	s_mov_b32 s7, 0x3fac98ee
	s_mov_b32 s15, 0xbfe11646
	v_add_f64 v[76:77], v[72:73], v[76:77]
	v_add_f64 v[72:73], v[72:73], -v[66:67]
	s_mov_b32 s8, 0x429ad128
	s_mov_b32 s9, 0x3febfeb5
	v_mul_f64 v[78:79], v[78:79], s[4:5]
	s_mov_b32 s16, 0xaaaaaaaa
	s_mov_b32 s18, 0x5476071b
	;; [unrolled: 1-line block ×3, first 2 shown]
	v_add_f64 v[84:85], v[0:1], v[76:77]
	v_add_f64 v[0:1], v[66:67], -v[20:21]
	v_add_f64 v[20:21], v[68:69], -v[74:75]
	v_mul_f64 v[66:67], v[72:73], s[6:7]
	v_mul_f64 v[74:75], v[82:83], s[14:15]
	v_add_f64 v[68:69], v[80:81], v[68:69]
	v_mul_f64 v[80:81], v[70:71], s[8:9]
	s_mov_b32 s17, 0xbff2aaaa
	s_mov_b32 s19, 0x3fe77f67
	;; [unrolled: 1-line block ×5, first 2 shown]
	v_fma_f64 v[72:73], v[72:73], s[6:7], v[78:79]
	v_fma_f64 v[76:77], v[76:77], s[16:17], v[84:85]
	v_fma_f64 v[66:67], v[0:1], s[18:19], -v[66:67]
	v_fma_f64 v[0:1], v[0:1], s[20:21], -v[78:79]
	v_fma_f64 v[78:79], v[20:21], s[22:23], v[74:75]
	s_mov_b32 s25, 0xbfd5d0dc
	s_mov_b32 s24, s22
	v_fma_f64 v[20:21], v[20:21], s[24:25], -v[80:81]
	v_fma_f64 v[70:71], v[70:71], s[8:9], -v[74:75]
	s_mov_b32 s26, 0x37c3f68c
	s_mov_b32 s27, 0x3fdc38aa
	v_add_f64 v[72:73], v[72:73], v[76:77]
	v_fma_f64 v[74:75], v[68:69], s[26:27], v[78:79]
	v_add_f64 v[66:67], v[66:67], v[76:77]
	v_add_f64 v[0:1], v[0:1], v[76:77]
	v_fma_f64 v[20:21], v[68:69], s[26:27], v[20:21]
	v_fma_f64 v[68:69], v[68:69], s[26:27], v[70:71]
	v_and_b32_e32 v63, 1, v65
	v_mov_b32_e32 v65, 0x49f
	v_cmp_eq_u32_e32 vcc, 1, v63
	v_add_f64 v[70:71], v[74:75], v[72:73]
	v_add_f64 v[72:73], v[72:73], -v[74:75]
	s_movk_i32 s28, 0x4e
	v_add_f64 v[76:77], v[20:21], v[0:1]
	v_add_f64 v[78:79], v[66:67], -v[68:69]
	v_add_f64 v[67:68], v[68:69], v[66:67]
	v_add_f64 v[20:21], v[0:1], -v[20:21]
	v_cndmask_b32_e32 v1, 0, v65, vcc
	v_mad_u32_u24 v0, v64, 56, 0
	v_lshl_add_u32 v66, v1, 3, v0
	v_cmp_gt_u32_e32 vcc, s28, v64
	ds_write2_b64 v66, v[84:85], v[70:71] offset1:1
	ds_write2_b64 v66, v[76:77], v[78:79] offset0:2 offset1:3
	ds_write2_b64 v66, v[67:68], v[20:21] offset0:4 offset1:5
	ds_write_b64 v66, v[72:73] offset:48
	s_and_saveexec_b64 s[28:29], vcc
	s_cbranch_execz .LBB0_17
; %bb.16:
	v_add_f64 v[20:21], v[46:47], v[26:27]
	v_add_f64 v[67:68], v[42:43], v[30:31]
	v_add_f64 v[69:70], v[40:41], -v[36:37]
	v_add_f64 v[71:72], v[32:33], -v[44:45]
	v_add_f64 v[73:74], v[38:39], v[34:35]
	v_add_f64 v[75:76], v[28:29], -v[48:49]
	v_add_u32_e32 v63, 0x13e8, v66
	v_add_u32_e32 v65, 0x13f8, v66
	v_add_f64 v[77:78], v[67:68], v[20:21]
	v_add_f64 v[79:80], v[69:70], -v[71:72]
	v_add_f64 v[81:82], v[20:21], -v[73:74]
	;; [unrolled: 1-line block ×5, first 2 shown]
	v_add_f64 v[73:74], v[73:74], v[77:78]
	v_add_f64 v[77:78], v[75:76], -v[69:70]
	v_add_f64 v[69:70], v[69:70], v[71:72]
	v_mul_f64 v[67:68], v[79:80], s[14:15]
	v_mul_f64 v[71:72], v[81:82], s[4:5]
	;; [unrolled: 1-line block ×4, first 2 shown]
	v_add_f64 v[22:23], v[22:23], v[73:74]
	v_add_f64 v[69:70], v[69:70], v[75:76]
	v_fma_f64 v[75:76], v[77:78], s[22:23], v[67:68]
	v_fma_f64 v[87:88], v[20:21], s[20:21], -v[71:72]
	v_fma_f64 v[71:72], v[85:86], s[6:7], v[71:72]
	v_fma_f64 v[77:78], v[77:78], s[24:25], -v[79:80]
	v_fma_f64 v[67:68], v[83:84], s[8:9], -v[67:68]
	v_fma_f64 v[73:74], v[73:74], s[16:17], v[22:23]
	v_fma_f64 v[20:21], v[20:21], s[18:19], -v[81:82]
	v_fma_f64 v[75:76], v[69:70], s[26:27], v[75:76]
	v_fma_f64 v[77:78], v[69:70], s[26:27], v[77:78]
	;; [unrolled: 1-line block ×3, first 2 shown]
	v_add_f64 v[71:72], v[71:72], v[73:74]
	v_add_f64 v[69:70], v[87:88], v[73:74]
	v_add_f64 v[20:21], v[20:21], v[73:74]
	v_add_f64 v[81:82], v[75:76], v[71:72]
	v_add_f64 v[73:74], v[69:70], -v[77:78]
	v_add_f64 v[79:80], v[20:21], -v[67:68]
	v_add_f64 v[69:70], v[77:78], v[69:70]
	v_add_f64 v[20:21], v[67:68], v[20:21]
	v_add_f64 v[67:68], v[71:72], -v[75:76]
	v_add_u32_e32 v71, 0x1408, v66
	ds_write2_b64 v63, v[22:23], v[81:82] offset1:1
	ds_write2_b64 v65, v[69:70], v[79:80] offset1:1
	;; [unrolled: 1-line block ×3, first 2 shown]
	ds_write_b64 v66, v[67:68] offset:5144
.LBB0_17:
	s_or_b64 exec, exec, s[28:29]
	v_add_f64 v[6:7], v[56:57], v[6:7]
	v_add_f64 v[10:11], v[52:53], v[10:11]
	v_add_f64 v[8:9], v[8:9], -v[50:51]
	v_add_f64 v[14:15], v[18:19], v[14:15]
	v_add_f64 v[12:13], v[16:17], -v[12:13]
	v_add_f64 v[4:5], v[4:5], -v[54:55]
	v_lshlrev_b32_e32 v54, 3, v1
	s_waitcnt lgkmcnt(0)
	s_barrier
	v_add_f64 v[16:17], v[10:11], v[6:7]
	v_add_f64 v[18:19], v[6:7], -v[14:15]
	v_add_f64 v[20:21], v[12:13], -v[8:9]
	;; [unrolled: 1-line block ×3, first 2 shown]
	v_add_f64 v[8:9], v[12:13], v[8:9]
	v_add_f64 v[12:13], v[4:5], -v[12:13]
	v_add_f64 v[16:17], v[14:15], v[16:17]
	v_add_f64 v[14:15], v[14:15], -v[10:11]
	v_mul_f64 v[18:19], v[18:19], s[4:5]
	v_mul_f64 v[20:21], v[20:21], s[14:15]
	;; [unrolled: 1-line block ×3, first 2 shown]
	v_add_f64 v[4:5], v[8:9], v[4:5]
	v_add_f64 v[67:68], v[2:3], v[16:17]
	v_add_f64 v[2:3], v[10:11], -v[6:7]
	v_mul_f64 v[6:7], v[14:15], s[6:7]
	v_fma_f64 v[8:9], v[14:15], s[6:7], v[18:19]
	v_fma_f64 v[10:11], v[12:13], s[22:23], v[20:21]
	v_fma_f64 v[14:15], v[22:23], s[8:9], -v[20:21]
	v_fma_f64 v[12:13], v[12:13], s[24:25], -v[50:51]
	v_fma_f64 v[16:17], v[16:17], s[16:17], v[67:68]
	v_fma_f64 v[18:19], v[2:3], s[20:21], -v[18:19]
	v_fma_f64 v[2:3], v[2:3], s[18:19], -v[6:7]
	v_fma_f64 v[6:7], v[4:5], s[26:27], v[10:11]
	v_fma_f64 v[10:11], v[4:5], s[26:27], v[14:15]
	;; [unrolled: 1-line block ×3, first 2 shown]
	v_mul_i32_i24_e32 v14, 0xffffffd0, v64
	v_add_f64 v[8:9], v[8:9], v[16:17]
	v_add_f64 v[12:13], v[18:19], v[16:17]
	;; [unrolled: 1-line block ×3, first 2 shown]
	v_lshlrev_b32_e32 v3, 3, v64
	v_add3_u32 v53, v0, v14, v54
	v_add3_u32 v52, 0, v54, v3
	v_add_u32_e32 v55, 0x800, v53
	v_add_u32_e32 v56, 0xc00, v53
	v_add_f64 v[69:70], v[8:9], -v[6:7]
	v_add_f64 v[71:72], v[12:13], -v[4:5]
	v_add_f64 v[73:74], v[10:11], v[1:2]
	v_add_f64 v[75:76], v[1:2], -v[10:11]
	v_add_f64 v[77:78], v[4:5], v[12:13]
	v_add_u32_e32 v57, 0x1000, v53
	v_add_u32_e32 v63, 0x1800, v53
	;; [unrolled: 1-line block ×3, first 2 shown]
	ds_read_b64 v[50:51], v52
	v_add_f64 v[79:80], v[6:7], v[8:9]
	ds_read2_b64 v[20:23], v53 offset0:91 offset1:182
	ds_read2_b64 v[16:19], v55 offset0:17 offset1:108
	;; [unrolled: 1-line block ×6, first 2 shown]
	s_waitcnt lgkmcnt(0)
	s_barrier
	ds_write2_b64 v66, v[67:68], v[69:70] offset1:1
	ds_write2_b64 v66, v[71:72], v[73:74] offset0:2 offset1:3
	ds_write2_b64 v66, v[75:76], v[77:78] offset0:4 offset1:5
	ds_write_b64 v66, v[79:80] offset:48
	s_and_saveexec_b64 s[4:5], vcc
	s_cbranch_execz .LBB0_19
; %bb.18:
	v_add_f64 v[28:29], v[48:49], v[28:29]
	v_add_f64 v[32:33], v[44:45], v[32:33]
	;; [unrolled: 1-line block ×3, first 2 shown]
	v_add_f64 v[34:35], v[38:39], -v[34:35]
	v_add_f64 v[30:31], v[30:31], -v[42:43]
	;; [unrolled: 1-line block ×3, first 2 shown]
	s_mov_b32 s8, 0x36b3c0b5
	s_mov_b32 s6, 0x37e14327
	;; [unrolled: 1-line block ×3, first 2 shown]
	v_add_f64 v[38:39], v[32:33], v[28:29]
	v_add_f64 v[40:41], v[28:29], -v[36:37]
	s_mov_b32 s7, 0x3fe948f6
	v_add_f64 v[42:43], v[34:35], v[30:31]
	v_add_f64 v[44:45], v[34:35], -v[30:31]
	v_add_f64 v[30:31], v[30:31], -v[26:27]
	;; [unrolled: 1-line block ×3, first 2 shown]
	s_mov_b32 s16, 0x429ad128
	v_add_f64 v[38:39], v[36:37], v[38:39]
	v_add_f64 v[36:37], v[36:37], -v[32:33]
	v_add_f64 v[32:33], v[26:27], -v[34:35]
	v_mul_f64 v[40:41], v[40:41], s[6:7]
	s_mov_b32 s17, 0x3febfeb5
	v_add_f64 v[26:27], v[42:43], v[26:27]
	v_mul_f64 v[42:43], v[44:45], s[14:15]
	v_mul_f64 v[44:45], v[30:31], s[16:17]
	v_add_f64 v[24:25], v[24:25], v[38:39]
	v_mul_f64 v[34:35], v[36:37], s[8:9]
	s_mov_b32 s7, 0x3fe77f67
	s_mov_b32 s6, 0x5476071b
	;; [unrolled: 1-line block ×4, first 2 shown]
	v_fma_f64 v[36:37], v[36:37], s[8:9], v[40:41]
	v_fma_f64 v[30:31], v[30:31], s[16:17], -v[42:43]
	v_fma_f64 v[38:39], v[38:39], s[18:19], v[24:25]
	v_fma_f64 v[34:35], v[28:29], s[6:7], -v[34:35]
	s_mov_b32 s7, 0xbfe77f67
	v_fma_f64 v[28:29], v[28:29], s[6:7], -v[40:41]
	s_mov_b32 s7, 0x3fd5d0dc
	s_mov_b32 s6, 0xb247c609
	v_fma_f64 v[40:41], v[32:33], s[6:7], v[42:43]
	s_mov_b32 s7, 0xbfd5d0dc
	v_fma_f64 v[32:33], v[32:33], s[6:7], -v[44:45]
	s_mov_b32 s6, 0x37c3f68c
	s_mov_b32 s7, 0x3fdc38aa
	v_add_f64 v[36:37], v[36:37], v[38:39]
	v_add_f64 v[34:35], v[34:35], v[38:39]
	v_add_f64 v[28:29], v[28:29], v[38:39]
	v_fma_f64 v[38:39], v[26:27], s[6:7], v[40:41]
	v_fma_f64 v[32:33], v[26:27], s[6:7], v[32:33]
	;; [unrolled: 1-line block ×3, first 2 shown]
	v_add_f64 v[30:31], v[36:37], -v[38:39]
	v_add_f64 v[40:41], v[28:29], -v[32:33]
	v_add_f64 v[42:43], v[26:27], v[34:35]
	v_add_f64 v[26:27], v[34:35], -v[26:27]
	v_add_f64 v[28:29], v[32:33], v[28:29]
	v_add_f64 v[32:33], v[38:39], v[36:37]
	v_add_u32_e32 v34, 0x5b, v64
	v_mul_u32_u24_e32 v34, 56, v34
	v_add3_u32 v34, 0, v34, v54
	ds_write2_b64 v34, v[24:25], v[30:31] offset1:1
	ds_write2_b64 v34, v[40:41], v[42:43] offset0:2 offset1:3
	ds_write2_b64 v34, v[26:27], v[28:29] offset0:4 offset1:5
	ds_write_b64 v34, v[32:33] offset:48
.LBB0_19:
	s_or_b64 exec, exec, s[4:5]
	v_mov_b32_e32 v24, 37
	v_mul_lo_u16_sdwa v24, v64, v24 dst_sel:DWORD dst_unused:UNUSED_PAD src0_sel:BYTE_0 src1_sel:DWORD
	v_sub_u16_sdwa v25, v64, v24 dst_sel:DWORD dst_unused:UNUSED_PAD src0_sel:DWORD src1_sel:BYTE_1
	v_lshrrev_b16_e32 v25, 1, v25
	v_and_b32_e32 v25, 0x7f, v25
	v_add_u16_sdwa v24, v25, v24 dst_sel:DWORD dst_unused:UNUSED_PAD src0_sel:DWORD src1_sel:BYTE_1
	v_lshrrev_b16_e32 v36, 2, v24
	v_mul_lo_u16_e32 v24, 7, v36
	v_sub_u16_e32 v37, v64, v24
	v_mov_b32_e32 v24, 12
	v_mul_u32_u24_sdwa v24, v37, v24 dst_sel:DWORD dst_unused:UNUSED_PAD src0_sel:BYTE_0 src1_sel:DWORD
	v_lshlrev_b32_e32 v32, 4, v24
	s_waitcnt lgkmcnt(0)
	s_barrier
	global_load_dwordx4 v[24:27], v32, s[12:13]
	global_load_dwordx4 v[28:31], v32, s[12:13] offset:16
	global_load_dwordx4 v[38:41], v32, s[12:13] offset:32
	;; [unrolled: 1-line block ×11, first 2 shown]
	ds_read_b64 v[34:35], v52
	ds_read2_b64 v[94:97], v53 offset0:91 offset1:182
	ds_read2_b64 v[98:101], v55 offset0:17 offset1:108
	;; [unrolled: 1-line block ×6, first 2 shown]
	s_mov_b32 s6, 0x4267c47c
	s_mov_b32 s8, 0x42a4c3d2
	;; [unrolled: 1-line block ×36, first 2 shown]
	s_movk_i32 s33, 0x2d8
	s_waitcnt vmcnt(0) lgkmcnt(0)
	s_barrier
	v_mul_f64 v[32:33], v[94:95], v[26:27]
	v_mul_f64 v[26:27], v[20:21], v[26:27]
	;; [unrolled: 1-line block ×8, first 2 shown]
	v_fma_f64 v[140:141], v[20:21], v[24:25], -v[32:33]
	v_fma_f64 v[26:27], v[94:95], v[24:25], v[26:27]
	v_mul_f64 v[120:121], v[98:99], v[40:41]
	v_mul_f64 v[40:41], v[16:17], v[40:41]
	v_fma_f64 v[94:95], v[22:23], v[28:29], -v[118:119]
	v_fma_f64 v[96:97], v[96:97], v[28:29], v[30:31]
	v_fma_f64 v[24:25], v[18:19], v[42:43], -v[122:123]
	v_fma_f64 v[28:29], v[100:101], v[42:43], v[44:45]
	;; [unrolled: 2-line block ×3, first 2 shown]
	v_add_f64 v[44:45], v[50:51], v[140:141]
	v_add_f64 v[46:47], v[34:35], v[26:27]
	v_fma_f64 v[118:119], v[16:17], v[38:39], -v[120:121]
	v_fma_f64 v[38:39], v[98:99], v[38:39], v[40:41]
	v_mul_f64 v[126:127], v[104:105], v[68:69]
	v_mul_f64 v[68:69], v[14:15], v[68:69]
	;; [unrolled: 1-line block ×4, first 2 shown]
	v_add_f64 v[44:45], v[44:45], v[94:95]
	v_add_f64 v[46:47], v[46:47], v[96:97]
	v_mul_f64 v[132:133], v[110:111], v[80:81]
	v_mul_f64 v[138:139], v[116:117], v[92:93]
	;; [unrolled: 1-line block ×3, first 2 shown]
	v_fma_f64 v[12:13], v[14:15], v[66:67], -v[126:127]
	v_fma_f64 v[14:15], v[104:105], v[66:67], v[68:69]
	v_mul_f64 v[130:131], v[108:109], v[76:77]
	v_add_f64 v[44:45], v[44:45], v[118:119]
	v_add_f64 v[46:47], v[46:47], v[38:39]
	v_mul_f64 v[76:77], v[10:11], v[76:77]
	v_mul_f64 v[80:81], v[0:1], v[80:81]
	v_mul_f64 v[136:137], v[114:115], v[88:89]
	v_fma_f64 v[8:9], v[8:9], v[70:71], -v[128:129]
	v_fma_f64 v[16:17], v[106:107], v[70:71], v[72:73]
	v_fma_f64 v[30:31], v[0:1], v[78:79], -v[132:133]
	v_add_f64 v[44:45], v[44:45], v[24:25]
	v_add_f64 v[46:47], v[46:47], v[28:29]
	v_fma_f64 v[0:1], v[6:7], v[90:91], -v[138:139]
	v_fma_f64 v[6:7], v[116:117], v[90:91], v[92:93]
	v_mul_f64 v[134:135], v[112:113], v[84:85]
	v_mul_f64 v[84:85], v[2:3], v[84:85]
	;; [unrolled: 1-line block ×3, first 2 shown]
	v_fma_f64 v[10:11], v[10:11], v[74:75], -v[130:131]
	v_add_f64 v[44:45], v[44:45], v[18:19]
	v_add_f64 v[46:47], v[46:47], v[20:21]
	v_fma_f64 v[22:23], v[108:109], v[74:75], v[76:77]
	v_fma_f64 v[4:5], v[4:5], v[86:87], -v[136:137]
	v_add_f64 v[66:67], v[26:27], v[6:7]
	v_add_f64 v[26:27], v[26:27], -v[6:7]
	v_fma_f64 v[32:33], v[110:111], v[78:79], v[80:81]
	v_fma_f64 v[2:3], v[2:3], v[82:83], -v[134:135]
	v_add_f64 v[44:45], v[44:45], v[12:13]
	v_add_f64 v[46:47], v[46:47], v[14:15]
	v_fma_f64 v[40:41], v[112:113], v[82:83], v[84:85]
	v_fma_f64 v[42:43], v[114:115], v[86:87], v[88:89]
	v_add_f64 v[48:49], v[140:141], v[0:1]
	v_add_f64 v[68:69], v[140:141], -v[0:1]
	v_add_f64 v[70:71], v[94:95], v[4:5]
	v_add_f64 v[74:75], v[94:95], -v[4:5]
	v_add_f64 v[44:45], v[44:45], v[8:9]
	v_add_f64 v[46:47], v[46:47], v[16:17]
	v_mul_f64 v[78:79], v[26:27], s[6:7]
	v_mul_f64 v[82:83], v[26:27], s[8:9]
	;; [unrolled: 1-line block ×6, first 2 shown]
	v_add_f64 v[44:45], v[44:45], v[10:11]
	v_add_f64 v[46:47], v[46:47], v[22:23]
	;; [unrolled: 1-line block ×3, first 2 shown]
	v_add_f64 v[76:77], v[96:97], -v[42:43]
	v_mul_f64 v[80:81], v[68:69], s[6:7]
	v_mul_f64 v[84:85], v[68:69], s[8:9]
	;; [unrolled: 1-line block ×6, first 2 shown]
	v_fma_f64 v[102:103], v[48:49], s[4:5], -v[78:79]
	v_fma_f64 v[78:79], v[48:49], s[4:5], v[78:79]
	v_fma_f64 v[106:107], v[48:49], s[14:15], -v[82:83]
	v_fma_f64 v[82:83], v[48:49], s[14:15], v[82:83]
	;; [unrolled: 2-line block ×6, first 2 shown]
	v_add_f64 v[26:27], v[44:45], v[30:31]
	v_add_f64 v[44:45], v[46:47], v[32:33]
	v_fma_f64 v[104:105], v[66:67], s[4:5], v[80:81]
	v_fma_f64 v[80:81], v[66:67], s[4:5], -v[80:81]
	v_fma_f64 v[108:109], v[66:67], s[14:15], v[84:85]
	v_fma_f64 v[84:85], v[66:67], s[14:15], -v[84:85]
	;; [unrolled: 2-line block ×6, first 2 shown]
	v_add_f64 v[26:27], v[26:27], v[2:3]
	v_add_f64 v[44:45], v[44:45], v[40:41]
	v_mul_f64 v[98:99], v[76:77], s[8:9]
	v_mul_f64 v[100:101], v[74:75], s[8:9]
	v_add_f64 v[68:69], v[50:51], v[102:103]
	v_add_f64 v[102:103], v[34:35], v[104:105]
	v_add_f64 v[46:47], v[50:51], v[78:79]
	v_add_f64 v[78:79], v[34:35], v[80:81]
	v_add_f64 v[104:105], v[34:35], v[108:109]
	v_add_f64 v[84:85], v[34:35], v[84:85]
	v_add_f64 v[108:109], v[34:35], v[112:113]
	v_add_f64 v[88:89], v[34:35], v[88:89]
	v_add_f64 v[112:113], v[34:35], v[116:117]
	v_add_f64 v[4:5], v[26:27], v[4:5]
	v_add_f64 v[26:27], v[44:45], v[42:43]
	v_add_f64 v[44:45], v[34:35], v[92:93]
	v_add_f64 v[92:93], v[34:35], v[122:123]
	v_add_f64 v[96:97], v[34:35], v[96:97]
	v_add_f64 v[116:117], v[34:35], v[126:127]
	v_add_f64 v[34:35], v[34:35], v[66:67]
	v_mul_f64 v[66:67], v[74:75], s[20:21]
	v_add_f64 v[80:81], v[50:51], v[106:107]
	v_add_f64 v[82:83], v[50:51], v[82:83]
	;; [unrolled: 1-line block ×10, first 2 shown]
	v_fma_f64 v[4:5], v[70:71], s[14:15], -v[98:99]
	v_fma_f64 v[6:7], v[72:73], s[14:15], v[100:101]
	v_add_f64 v[114:115], v[50:51], v[124:125]
	v_add_f64 v[48:49], v[50:51], v[48:49]
	v_mul_f64 v[50:51], v[76:77], s[20:21]
	v_fma_f64 v[98:99], v[70:71], s[14:15], v[98:99]
	v_fma_f64 v[100:101], v[72:73], s[14:15], -v[100:101]
	v_fma_f64 v[122:123], v[72:73], s[22:23], v[66:67]
	v_add_f64 v[4:5], v[4:5], v[68:69]
	v_add_f64 v[6:7], v[6:7], v[102:103]
	v_mul_f64 v[68:69], v[76:77], s[28:29]
	v_mul_f64 v[102:103], v[74:75], s[28:29]
	v_fma_f64 v[120:121], v[70:71], s[22:23], -v[50:51]
	v_add_f64 v[46:47], v[98:99], v[46:47]
	v_add_f64 v[78:79], v[100:101], v[78:79]
	;; [unrolled: 1-line block ×3, first 2 shown]
	v_mul_f64 v[100:101], v[76:77], s[34:35]
	v_mul_f64 v[104:105], v[74:75], s[34:35]
	v_fma_f64 v[50:51], v[70:71], s[22:23], v[50:51]
	v_fma_f64 v[66:67], v[72:73], s[22:23], -v[66:67]
	v_add_f64 v[80:81], v[120:121], v[80:81]
	v_fma_f64 v[124:125], v[70:71], s[30:31], -v[68:69]
	v_fma_f64 v[126:127], v[72:73], s[30:31], v[102:103]
	v_fma_f64 v[68:69], v[70:71], s[30:31], v[68:69]
	v_fma_f64 v[120:121], v[70:71], s[26:27], -v[100:101]
	v_fma_f64 v[122:123], v[72:73], s[26:27], v[104:105]
	v_fma_f64 v[100:101], v[70:71], s[26:27], v[100:101]
	v_fma_f64 v[104:105], v[72:73], s[26:27], -v[104:105]
	v_fma_f64 v[102:103], v[72:73], s[30:31], -v[102:103]
	v_add_f64 v[50:51], v[50:51], v[82:83]
	v_add_f64 v[66:67], v[66:67], v[84:85]
	;; [unrolled: 1-line block ×4, first 2 shown]
	v_mul_f64 v[106:107], v[76:77], s[36:37]
	v_add_f64 v[42:43], v[100:101], v[42:43]
	v_add_f64 v[44:45], v[104:105], v[44:45]
	v_add_f64 v[100:101], v[38:39], -v[40:41]
	v_add_f64 v[104:105], v[118:119], -v[2:3]
	v_mul_f64 v[108:109], v[74:75], s[36:37]
	v_add_f64 v[68:69], v[68:69], v[86:87]
	v_add_f64 v[86:87], v[102:103], v[88:89]
	;; [unrolled: 1-line block ×3, first 2 shown]
	v_mul_f64 v[76:77], v[76:77], s[38:39]
	v_mul_f64 v[74:75], v[74:75], s[38:39]
	v_add_f64 v[2:3], v[118:119], v[2:3]
	v_add_f64 v[38:39], v[38:39], v[40:41]
	v_mul_f64 v[40:41], v[100:101], s[18:19]
	v_mul_f64 v[110:111], v[104:105], s[18:19]
	v_fma_f64 v[124:125], v[70:71], s[16:17], -v[106:107]
	v_fma_f64 v[126:127], v[72:73], s[16:17], v[108:109]
	v_add_f64 v[102:103], v[122:123], v[112:113]
	v_fma_f64 v[106:107], v[70:71], s[16:17], v[106:107]
	v_fma_f64 v[108:109], v[72:73], s[16:17], -v[108:109]
	v_fma_f64 v[112:113], v[70:71], s[4:5], -v[76:77]
	v_fma_f64 v[118:119], v[72:73], s[4:5], v[74:75]
	v_fma_f64 v[70:71], v[70:71], s[4:5], v[76:77]
	v_fma_f64 v[72:73], v[72:73], s[4:5], -v[74:75]
	v_fma_f64 v[74:75], v[2:3], s[16:17], -v[40:41]
	v_fma_f64 v[76:77], v[38:39], s[16:17], v[110:111]
	v_fma_f64 v[40:41], v[2:3], s[16:17], v[40:41]
	v_add_f64 v[94:95], v[106:107], v[94:95]
	v_add_f64 v[106:107], v[112:113], v[114:115]
	v_add_f64 v[90:91], v[124:125], v[90:91]
	v_add_f64 v[48:49], v[70:71], v[48:49]
	v_add_f64 v[34:35], v[72:73], v[34:35]
	v_add_f64 v[4:5], v[74:75], v[4:5]
	v_add_f64 v[6:7], v[76:77], v[6:7]
	v_mul_f64 v[70:71], v[100:101], s[28:29]
	v_mul_f64 v[72:73], v[104:105], s[28:29]
	v_fma_f64 v[74:75], v[38:39], s[16:17], -v[110:111]
	v_mul_f64 v[76:77], v[100:101], s[40:41]
	v_mul_f64 v[110:111], v[104:105], s[40:41]
	v_add_f64 v[40:41], v[40:41], v[46:47]
	v_add_f64 v[92:93], v[126:127], v[92:93]
	;; [unrolled: 1-line block ×3, first 2 shown]
	v_fma_f64 v[112:113], v[2:3], s[30:31], -v[70:71]
	v_fma_f64 v[114:115], v[38:39], s[30:31], v[72:73]
	v_fma_f64 v[70:71], v[2:3], s[30:31], v[70:71]
	v_fma_f64 v[72:73], v[38:39], s[30:31], -v[72:73]
	v_add_f64 v[46:47], v[74:75], v[78:79]
	v_fma_f64 v[74:75], v[2:3], s[22:23], -v[76:77]
	v_fma_f64 v[78:79], v[38:39], s[22:23], v[110:111]
	v_fma_f64 v[76:77], v[2:3], s[22:23], v[76:77]
	v_add_f64 v[80:81], v[112:113], v[80:81]
	v_add_f64 v[98:99], v[114:115], v[98:99]
	;; [unrolled: 1-line block ×4, first 2 shown]
	v_mul_f64 v[70:71], v[100:101], s[38:39]
	v_mul_f64 v[72:73], v[104:105], s[38:39]
	v_add_f64 v[74:75], v[74:75], v[82:83]
	v_add_f64 v[78:79], v[78:79], v[84:85]
	v_fma_f64 v[82:83], v[38:39], s[22:23], -v[110:111]
	v_mul_f64 v[84:85], v[100:101], s[8:9]
	v_mul_f64 v[110:111], v[104:105], s[8:9]
	v_add_f64 v[68:69], v[76:77], v[68:69]
	v_fma_f64 v[112:113], v[2:3], s[4:5], -v[70:71]
	v_fma_f64 v[114:115], v[38:39], s[4:5], v[72:73]
	v_fma_f64 v[70:71], v[2:3], s[4:5], v[70:71]
	v_fma_f64 v[72:73], v[38:39], s[4:5], -v[72:73]
	v_add_f64 v[76:77], v[82:83], v[86:87]
	v_fma_f64 v[82:83], v[2:3], s[14:15], -v[84:85]
	v_fma_f64 v[86:87], v[38:39], s[14:15], v[110:111]
	v_fma_f64 v[84:85], v[2:3], s[14:15], v[84:85]
	v_add_f64 v[88:89], v[112:113], v[88:89]
	v_add_f64 v[102:103], v[114:115], v[102:103]
	;; [unrolled: 1-line block ×4, first 2 shown]
	v_mul_f64 v[70:71], v[100:101], s[24:25]
	v_mul_f64 v[72:73], v[104:105], s[24:25]
	v_add_f64 v[82:83], v[82:83], v[90:91]
	v_add_f64 v[86:87], v[86:87], v[92:93]
	v_add_f64 v[90:91], v[28:29], -v[32:33]
	v_add_f64 v[92:93], v[24:25], -v[30:31]
	v_fma_f64 v[100:101], v[38:39], s[14:15], -v[110:111]
	v_add_f64 v[24:25], v[24:25], v[30:31]
	v_fma_f64 v[104:105], v[2:3], s[26:27], -v[70:71]
	v_fma_f64 v[110:111], v[38:39], s[26:27], v[72:73]
	v_add_f64 v[28:29], v[28:29], v[32:33]
	v_fma_f64 v[2:3], v[2:3], s[26:27], v[70:71]
	v_mul_f64 v[30:31], v[90:91], s[20:21]
	v_mul_f64 v[32:33], v[92:93], s[20:21]
	v_fma_f64 v[38:39], v[38:39], s[26:27], -v[72:73]
	v_add_f64 v[72:73], v[100:101], v[96:97]
	v_add_f64 v[70:71], v[84:85], v[94:95]
	;; [unrolled: 1-line block ×5, first 2 shown]
	v_fma_f64 v[96:97], v[24:25], s[22:23], -v[30:31]
	v_fma_f64 v[100:101], v[28:29], s[22:23], v[32:33]
	v_add_f64 v[34:35], v[38:39], v[34:35]
	v_mul_f64 v[38:39], v[90:91], s[34:35]
	v_mul_f64 v[48:49], v[92:93], s[34:35]
	v_fma_f64 v[30:31], v[24:25], s[22:23], v[30:31]
	v_fma_f64 v[32:33], v[28:29], s[22:23], -v[32:33]
	v_add_f64 v[94:95], v[110:111], v[108:109]
	v_add_f64 v[4:5], v[96:97], v[4:5]
	;; [unrolled: 1-line block ×3, first 2 shown]
	v_mul_f64 v[96:97], v[90:91], s[38:39]
	v_mul_f64 v[100:101], v[92:93], s[38:39]
	v_fma_f64 v[104:105], v[24:25], s[26:27], -v[38:39]
	v_fma_f64 v[106:107], v[28:29], s[26:27], v[48:49]
	v_add_f64 v[30:31], v[30:31], v[40:41]
	v_add_f64 v[32:33], v[32:33], v[46:47]
	v_fma_f64 v[38:39], v[24:25], s[26:27], v[38:39]
	v_fma_f64 v[40:41], v[28:29], s[26:27], -v[48:49]
	v_fma_f64 v[46:47], v[24:25], s[4:5], -v[96:97]
	v_fma_f64 v[48:49], v[28:29], s[4:5], v[100:101]
	v_add_f64 v[80:81], v[104:105], v[80:81]
	v_add_f64 v[98:99], v[106:107], v[98:99]
	v_mul_f64 v[104:105], v[90:91], s[18:19]
	v_mul_f64 v[106:107], v[92:93], s[18:19]
	v_add_f64 v[38:39], v[38:39], v[50:51]
	v_add_f64 v[40:41], v[40:41], v[66:67]
	;; [unrolled: 1-line block ×4, first 2 shown]
	v_fma_f64 v[50:51], v[24:25], s[4:5], v[96:97]
	v_fma_f64 v[66:67], v[28:29], s[4:5], -v[100:101]
	v_fma_f64 v[74:75], v[24:25], s[16:17], -v[104:105]
	v_fma_f64 v[78:79], v[28:29], s[16:17], v[106:107]
	v_mul_f64 v[96:97], v[90:91], s[42:43]
	v_mul_f64 v[100:101], v[92:93], s[42:43]
	v_fma_f64 v[104:105], v[24:25], s[16:17], v[104:105]
	v_fma_f64 v[106:107], v[28:29], s[16:17], -v[106:107]
	v_add_f64 v[50:51], v[50:51], v[68:69]
	v_add_f64 v[66:67], v[66:67], v[76:77]
	;; [unrolled: 1-line block ×4, first 2 shown]
	v_fma_f64 v[76:77], v[24:25], s[30:31], -v[96:97]
	v_fma_f64 v[78:79], v[28:29], s[30:31], v[100:101]
	v_mul_f64 v[88:89], v[90:91], s[44:45]
	v_mul_f64 v[90:91], v[92:93], s[44:45]
	v_fma_f64 v[92:93], v[24:25], s[30:31], v[96:97]
	v_fma_f64 v[96:97], v[28:29], s[30:31], -v[100:101]
	v_add_f64 v[42:43], v[104:105], v[42:43]
	v_add_f64 v[44:45], v[106:107], v[44:45]
	v_add_f64 v[76:77], v[76:77], v[82:83]
	v_add_f64 v[78:79], v[78:79], v[86:87]
	v_add_f64 v[82:83], v[20:21], -v[22:23]
	v_add_f64 v[86:87], v[18:19], -v[10:11]
	v_fma_f64 v[100:101], v[24:25], s[14:15], -v[88:89]
	v_fma_f64 v[102:103], v[28:29], s[14:15], v[90:91]
	v_add_f64 v[10:11], v[18:19], v[10:11]
	v_add_f64 v[18:19], v[20:21], v[22:23]
	v_fma_f64 v[24:25], v[24:25], s[14:15], v[88:89]
	v_fma_f64 v[28:29], v[28:29], s[14:15], -v[90:91]
	v_mul_f64 v[20:21], v[82:83], s[24:25]
	v_mul_f64 v[22:23], v[86:87], s[24:25]
	v_add_f64 v[70:71], v[92:93], v[70:71]
	v_add_f64 v[72:73], v[96:97], v[72:73]
	;; [unrolled: 1-line block ×6, first 2 shown]
	v_fma_f64 v[90:91], v[10:11], s[26:27], -v[20:21]
	v_fma_f64 v[92:93], v[18:19], s[26:27], v[22:23]
	v_mul_f64 v[28:29], v[82:83], s[36:37]
	v_mul_f64 v[34:35], v[86:87], s[36:37]
	v_fma_f64 v[20:21], v[10:11], s[26:27], v[20:21]
	v_fma_f64 v[22:23], v[18:19], s[26:27], -v[22:23]
	v_add_f64 v[4:5], v[90:91], v[4:5]
	v_add_f64 v[6:7], v[92:93], v[6:7]
	v_mul_f64 v[90:91], v[82:83], s[8:9]
	v_mul_f64 v[92:93], v[86:87], s[8:9]
	v_fma_f64 v[94:95], v[10:11], s[16:17], -v[28:29]
	v_fma_f64 v[96:97], v[18:19], s[16:17], v[34:35]
	v_add_f64 v[20:21], v[20:21], v[30:31]
	v_fma_f64 v[28:29], v[10:11], s[16:17], v[28:29]
	v_fma_f64 v[30:31], v[18:19], s[16:17], -v[34:35]
	v_add_f64 v[22:23], v[22:23], v[32:33]
	v_fma_f64 v[32:33], v[10:11], s[14:15], -v[90:91]
	v_fma_f64 v[34:35], v[18:19], s[14:15], v[92:93]
	v_add_f64 v[80:81], v[94:95], v[80:81]
	v_add_f64 v[94:95], v[96:97], v[98:99]
	v_mul_f64 v[96:97], v[82:83], s[42:43]
	v_mul_f64 v[98:99], v[86:87], s[42:43]
	v_add_f64 v[28:29], v[28:29], v[38:39]
	v_add_f64 v[30:31], v[30:31], v[40:41]
	v_fma_f64 v[38:39], v[10:11], s[14:15], v[90:91]
	v_fma_f64 v[40:41], v[18:19], s[14:15], -v[92:93]
	v_mul_f64 v[90:91], v[82:83], s[38:39]
	v_mul_f64 v[92:93], v[86:87], s[38:39]
	v_add_f64 v[32:33], v[32:33], v[46:47]
	v_add_f64 v[34:35], v[34:35], v[48:49]
	v_fma_f64 v[46:47], v[10:11], s[30:31], -v[96:97]
	v_fma_f64 v[48:49], v[18:19], s[30:31], v[98:99]
	v_add_f64 v[38:39], v[38:39], v[50:51]
	v_add_f64 v[40:41], v[40:41], v[66:67]
	v_fma_f64 v[50:51], v[10:11], s[4:5], -v[90:91]
	v_fma_f64 v[66:67], v[18:19], s[4:5], v[92:93]
	v_mul_f64 v[82:83], v[82:83], s[20:21]
	v_mul_f64 v[86:87], v[86:87], s[20:21]
	v_add_f64 v[46:47], v[46:47], v[68:69]
	v_add_f64 v[48:49], v[48:49], v[74:75]
	v_fma_f64 v[68:69], v[10:11], s[4:5], v[90:91]
	v_fma_f64 v[74:75], v[18:19], s[4:5], -v[92:93]
	v_add_f64 v[50:51], v[50:51], v[76:77]
	v_add_f64 v[66:67], v[66:67], v[78:79]
	v_add_f64 v[76:77], v[14:15], -v[16:17]
	v_add_f64 v[78:79], v[12:13], -v[8:9]
	v_add_f64 v[8:9], v[12:13], v[8:9]
	v_add_f64 v[12:13], v[14:15], v[16:17]
	;; [unrolled: 1-line block ×4, first 2 shown]
	v_fma_f64 v[72:73], v[10:11], s[22:23], -v[82:83]
	v_fma_f64 v[74:75], v[18:19], s[22:23], v[86:87]
	v_mul_f64 v[14:15], v[76:77], s[28:29]
	v_mul_f64 v[16:17], v[78:79], s[28:29]
	v_fma_f64 v[96:97], v[10:11], s[30:31], v[96:97]
	v_fma_f64 v[98:99], v[18:19], s[30:31], -v[98:99]
	v_fma_f64 v[10:11], v[10:11], s[22:23], v[82:83]
	v_fma_f64 v[18:19], v[18:19], s[22:23], -v[86:87]
	v_add_f64 v[72:73], v[72:73], v[84:85]
	v_add_f64 v[74:75], v[74:75], v[88:89]
	v_mul_f64 v[82:83], v[76:77], s[38:39]
	v_mul_f64 v[84:85], v[78:79], s[38:39]
	v_fma_f64 v[86:87], v[8:9], s[30:31], -v[14:15]
	v_fma_f64 v[88:89], v[12:13], s[30:31], v[16:17]
	v_add_f64 v[2:3], v[10:11], v[2:3]
	v_add_f64 v[10:11], v[18:19], v[24:25]
	v_fma_f64 v[14:15], v[8:9], s[30:31], v[14:15]
	v_fma_f64 v[16:17], v[12:13], s[30:31], -v[16:17]
	v_fma_f64 v[18:19], v[8:9], s[4:5], -v[82:83]
	v_fma_f64 v[24:25], v[12:13], s[4:5], v[84:85]
	v_add_f64 v[4:5], v[86:87], v[4:5]
	v_add_f64 v[86:87], v[88:89], v[6:7]
	v_mul_f64 v[6:7], v[76:77], s[24:25]
	v_mul_f64 v[88:89], v[78:79], s[24:25]
	v_add_f64 v[14:15], v[14:15], v[20:21]
	v_add_f64 v[90:91], v[16:17], v[22:23]
	;; [unrolled: 1-line block ×4, first 2 shown]
	v_fma_f64 v[18:19], v[8:9], s[4:5], v[82:83]
	v_fma_f64 v[20:21], v[12:13], s[4:5], -v[84:85]
	v_fma_f64 v[22:23], v[8:9], s[26:27], -v[6:7]
	v_fma_f64 v[24:25], v[12:13], s[26:27], v[88:89]
	v_mul_f64 v[82:83], v[76:77], s[44:45]
	v_mul_f64 v[84:85], v[78:79], s[44:45]
	v_fma_f64 v[88:89], v[12:13], s[26:27], -v[88:89]
	v_fma_f64 v[6:7], v[8:9], s[26:27], v[6:7]
	v_add_f64 v[18:19], v[18:19], v[28:29]
	v_add_f64 v[28:29], v[20:21], v[30:31]
	;; [unrolled: 1-line block ×4, first 2 shown]
	v_fma_f64 v[22:23], v[8:9], s[14:15], -v[82:83]
	v_fma_f64 v[24:25], v[12:13], s[14:15], v[84:85]
	v_add_f64 v[42:43], v[96:97], v[42:43]
	v_add_f64 v[32:33], v[88:89], v[40:41]
	v_fma_f64 v[34:35], v[8:9], s[14:15], v[82:83]
	v_mul_f64 v[40:41], v[76:77], s[20:21]
	v_add_f64 v[44:45], v[98:99], v[44:45]
	v_add_f64 v[6:7], v[6:7], v[38:39]
	;; [unrolled: 1-line block ×4, first 2 shown]
	v_mul_f64 v[24:25], v[76:77], s[36:37]
	v_fma_f64 v[38:39], v[12:13], s[14:15], -v[84:85]
	v_mul_f64 v[82:83], v[78:79], s[20:21]
	v_mul_f64 v[48:49], v[78:79], s[36:37]
	v_add_f64 v[34:35], v[34:35], v[42:43]
	v_fma_f64 v[42:43], v[8:9], s[22:23], -v[40:41]
	v_fma_f64 v[40:41], v[8:9], s[22:23], v[40:41]
	v_fma_f64 v[78:79], v[8:9], s[16:17], -v[24:25]
	v_fma_f64 v[8:9], v[8:9], s[16:17], v[24:25]
	v_add_f64 v[38:39], v[38:39], v[44:45]
	v_fma_f64 v[44:45], v[12:13], s[22:23], v[82:83]
	v_fma_f64 v[76:77], v[12:13], s[22:23], -v[82:83]
	v_fma_f64 v[82:83], v[12:13], s[16:17], v[48:49]
	v_fma_f64 v[12:13], v[12:13], s[16:17], -v[48:49]
	v_add_f64 v[24:25], v[42:43], v[50:51]
	v_add_f64 v[48:49], v[78:79], v[72:73]
	v_add_f64 v[2:3], v[8:9], v[2:3]
	v_add_f64 v[40:41], v[40:41], v[68:69]
	v_mov_b32_e32 v9, 3
	v_mad_u32_u24 v8, v36, s33, 0
	v_lshlrev_b32_sdwa v9, v9, v37 dst_sel:DWORD dst_unused:UNUSED_PAD src0_sel:DWORD src1_sel:BYTE_0
	v_add3_u32 v36, v8, v9, v54
	v_add_f64 v[42:43], v[44:45], v[66:67]
	v_add_f64 v[66:67], v[12:13], v[10:11]
	ds_write2_b64 v36, v[0:1], v[4:5] offset1:7
	ds_write2_b64 v36, v[16:17], v[20:21] offset0:14 offset1:21
	ds_write2_b64 v36, v[22:23], v[24:25] offset0:28 offset1:35
	;; [unrolled: 1-line block ×5, first 2 shown]
	ds_write_b64 v36, v[14:15] offset:672
	s_waitcnt lgkmcnt(0)
	s_barrier
	ds_read_b64 v[24:25], v52
	ds_read2_b64 v[4:7], v53 offset0:91 offset1:182
	ds_read2_b64 v[8:11], v55 offset0:17 offset1:108
	;; [unrolled: 1-line block ×6, first 2 shown]
	v_add_f64 v[50:51], v[82:83], v[74:75]
	v_add_f64 v[44:45], v[76:77], v[70:71]
	s_waitcnt lgkmcnt(0)
	s_barrier
	ds_write2_b64 v36, v[26:27], v[86:87] offset1:7
	ds_write2_b64 v36, v[80:81], v[30:31] offset0:14 offset1:21
	ds_write2_b64 v36, v[46:47], v[42:43] offset0:28 offset1:35
	;; [unrolled: 1-line block ×5, first 2 shown]
	ds_write_b64 v36, v[90:91] offset:672
	s_waitcnt lgkmcnt(0)
	s_barrier
	s_and_saveexec_b64 s[46:47], s[0:1]
	s_cbranch_execz .LBB0_21
; %bb.20:
	v_mul_u32_u24_e32 v26, 12, v64
	v_lshlrev_b32_e32 v26, 4, v26
	global_load_dwordx4 v[28:31], v26, s[12:13] offset:1424
	global_load_dwordx4 v[32:35], v26, s[12:13] offset:1408
	;; [unrolled: 1-line block ×12, first 2 shown]
	ds_read2_b64 v[95:98], v53 offset0:91 offset1:182
	v_add_u32_e32 v44, 0xc00, v53
	v_add_u32_e32 v48, 0x1000, v53
	;; [unrolled: 1-line block ×5, first 2 shown]
	ds_read_b64 v[26:27], v52
	ds_read2_b64 v[44:47], v44 offset0:71 offset1:162
	ds_read2_b64 v[99:102], v48 offset0:125 offset1:216
	;; [unrolled: 1-line block ×5, first 2 shown]
	s_waitcnt vmcnt(11)
	v_mul_f64 v[48:49], v[22:23], v[30:31]
	s_waitcnt vmcnt(10)
	v_mul_f64 v[52:53], v[20:21], v[34:35]
	s_waitcnt lgkmcnt(4)
	v_mul_f64 v[34:35], v[44:45], v[34:35]
	v_mul_f64 v[30:31], v[46:47], v[30:31]
	s_waitcnt vmcnt(9)
	v_mul_f64 v[56:57], v[16:17], v[38:39]
	s_waitcnt lgkmcnt(3)
	v_mul_f64 v[38:39], v[99:100], v[38:39]
	s_waitcnt vmcnt(8)
	v_mul_f64 v[115:116], v[18:19], v[42:43]
	v_mul_f64 v[42:43], v[101:102], v[42:43]
	s_waitcnt vmcnt(3)
	v_mul_f64 v[125:126], v[6:7], v[81:82]
	;; [unrolled: 3-line block ×3, first 2 shown]
	s_waitcnt vmcnt(0)
	v_mul_f64 v[131:132], v[2:3], v[93:94]
	v_mul_f64 v[117:118], v[10:11], v[65:66]
	s_waitcnt lgkmcnt(2)
	v_mul_f64 v[65:66], v[105:106], v[65:66]
	v_mul_f64 v[121:122], v[8:9], v[73:74]
	v_mul_f64 v[123:124], v[14:15], v[77:78]
	s_waitcnt lgkmcnt(1)
	v_mul_f64 v[77:78], v[109:110], v[77:78]
	;; [unrolled: 4-line block ×3, first 2 shown]
	v_fma_f64 v[54:55], v[20:21], v[32:33], -v[34:35]
	v_fma_f64 v[89:90], v[95:96], v[87:88], v[81:82]
	v_fma_f64 v[20:21], v[113:114], v[91:92], v[131:132]
	v_mul_f64 v[85:86], v[111:112], v[85:86]
	v_fma_f64 v[48:49], v[46:47], v[28:29], v[48:49]
	v_fma_f64 v[50:51], v[22:23], v[28:29], -v[30:31]
	v_fma_f64 v[52:53], v[44:45], v[32:33], v[52:53]
	v_fma_f64 v[46:47], v[99:100], v[36:37], v[56:57]
	v_fma_f64 v[44:45], v[16:17], v[36:37], -v[38:39]
	v_fma_f64 v[36:37], v[101:102], v[40:41], v[115:116]
	v_fma_f64 v[38:39], v[18:19], v[40:41], -v[42:43]
	;; [unrolled: 2-line block ×4, first 2 shown]
	v_fma_f64 v[77:78], v[97:98], v[79:80], v[125:126]
	v_fma_f64 v[30:31], v[111:112], v[83:84], v[127:128]
	v_fma_f64 v[81:82], v[4:5], v[87:88], -v[133:134]
	v_fma_f64 v[22:23], v[2:3], v[91:92], -v[93:94]
	v_add_f64 v[121:122], v[89:90], v[20:21]
	v_add_f64 v[99:100], v[89:90], -v[20:21]
	v_mul_f64 v[119:120], v[12:13], v[69:70]
	v_mul_f64 v[69:70], v[107:108], v[69:70]
	;; [unrolled: 1-line block ×3, first 2 shown]
	v_fma_f64 v[28:29], v[109:110], v[75:76], v[123:124]
	v_fma_f64 v[79:80], v[6:7], v[79:80], -v[129:130]
	v_fma_f64 v[42:43], v[0:1], v[83:84], -v[85:86]
	v_add_f64 v[123:124], v[77:78], v[30:31]
	v_add_f64 v[85:86], v[81:82], -v[22:23]
	v_add_f64 v[97:98], v[77:78], -v[30:31]
	v_add_f64 v[91:92], v[81:82], v[22:23]
	v_mul_f64 v[0:1], v[121:122], s[30:31]
	v_mul_f64 v[2:3], v[99:100], s[28:29]
	v_fma_f64 v[32:33], v[107:108], v[67:68], v[119:120]
	v_fma_f64 v[34:35], v[12:13], v[67:68], -v[69:70]
	v_fma_f64 v[67:68], v[8:9], v[71:72], -v[73:74]
	v_add_f64 v[105:106], v[65:66], v[28:29]
	v_add_f64 v[83:84], v[79:80], -v[42:43]
	v_add_f64 v[73:74], v[65:66], -v[28:29]
	v_add_f64 v[87:88], v[79:80], v[42:43]
	v_mul_f64 v[4:5], v[123:124], s[4:5]
	v_mul_f64 v[6:7], v[97:98], s[38:39]
	v_fma_f64 v[137:138], v[85:86], s[42:43], v[0:1]
	v_fma_f64 v[139:140], v[91:92], s[30:31], v[2:3]
	v_add_f64 v[101:102], v[56:57], v[32:33]
	v_add_f64 v[69:70], v[67:68], -v[40:41]
	v_add_f64 v[75:76], v[56:57], -v[32:33]
	v_add_f64 v[71:72], v[67:68], v[40:41]
	v_mul_f64 v[8:9], v[105:106], s[26:27]
	v_mul_f64 v[10:11], v[73:74], s[24:25]
	v_fma_f64 v[145:146], v[83:84], s[6:7], v[4:5]
	v_fma_f64 v[147:148], v[87:88], s[4:5], v[6:7]
	v_add_f64 v[137:138], v[26:27], v[137:138]
	v_add_f64 v[139:140], v[24:25], v[139:140]
	v_fma_f64 v[0:1], v[85:86], s[28:29], v[0:1]
	v_fma_f64 v[2:3], v[91:92], s[30:31], -v[2:3]
	v_add_f64 v[95:96], v[63:64], -v[34:35]
	v_add_f64 v[93:94], v[63:64], v[34:35]
	v_add_f64 v[119:120], v[52:53], v[36:37]
	v_add_f64 v[111:112], v[52:53], -v[36:37]
	v_mul_f64 v[12:13], v[101:102], s[14:15]
	v_mul_f64 v[14:15], v[75:76], s[44:45]
	v_fma_f64 v[149:150], v[69:70], s[34:35], v[8:9]
	v_fma_f64 v[151:152], v[71:72], s[26:27], v[10:11]
	v_fma_f64 v[4:5], v[83:84], s[38:39], v[4:5]
	v_add_f64 v[137:138], v[145:146], v[137:138]
	v_add_f64 v[139:140], v[147:148], v[139:140]
	;; [unrolled: 1-line block ×3, first 2 shown]
	v_fma_f64 v[6:7], v[87:88], s[4:5], -v[6:7]
	v_add_f64 v[2:3], v[24:25], v[2:3]
	v_add_f64 v[103:104], v[54:55], -v[38:39]
	v_add_f64 v[107:108], v[54:55], v[38:39]
	v_add_f64 v[115:116], v[48:49], v[46:47]
	v_add_f64 v[117:118], v[48:49], -v[46:47]
	v_mul_f64 v[16:17], v[119:120], s[22:23]
	v_mul_f64 v[18:19], v[111:112], s[20:21]
	;; [unrolled: 1-line block ×4, first 2 shown]
	v_fma_f64 v[153:154], v[95:96], s[8:9], v[12:13]
	v_fma_f64 v[155:156], v[93:94], s[14:15], v[14:15]
	;; [unrolled: 1-line block ×3, first 2 shown]
	v_add_f64 v[137:138], v[149:150], v[137:138]
	v_add_f64 v[139:140], v[151:152], v[139:140]
	v_add_f64 v[0:1], v[4:5], v[0:1]
	v_fma_f64 v[10:11], v[71:72], s[26:27], -v[10:11]
	v_add_f64 v[2:3], v[6:7], v[2:3]
	v_add_f64 v[109:110], v[50:51], -v[44:45]
	v_add_f64 v[113:114], v[50:51], v[44:45]
	v_mul_f64 v[125:126], v[115:116], s[16:17]
	v_mul_f64 v[127:128], v[117:118], s[36:37]
	;; [unrolled: 1-line block ×4, first 2 shown]
	v_fma_f64 v[157:158], v[103:104], s[40:41], v[16:17]
	v_fma_f64 v[145:146], v[107:108], s[22:23], v[18:19]
	;; [unrolled: 1-line block ×3, first 2 shown]
	v_fma_f64 v[6:7], v[93:94], s[14:15], -v[14:15]
	v_add_f64 v[14:15], v[153:154], v[137:138]
	v_add_f64 v[137:138], v[155:156], v[139:140]
	;; [unrolled: 1-line block ×3, first 2 shown]
	v_fma_f64 v[8:9], v[85:86], s[34:35], v[129:130]
	v_add_f64 v[2:3], v[10:11], v[2:3]
	v_fma_f64 v[10:11], v[91:92], s[26:27], v[135:136]
	v_mul_f64 v[133:134], v[105:106], s[14:15]
	v_mul_f64 v[143:144], v[73:74], s[8:9]
	v_fma_f64 v[147:148], v[109:110], s[18:19], v[125:126]
	v_fma_f64 v[4:5], v[113:114], s[16:17], v[127:128]
	;; [unrolled: 1-line block ×4, first 2 shown]
	v_add_f64 v[14:15], v[157:158], v[14:15]
	v_add_f64 v[137:138], v[145:146], v[137:138]
	;; [unrolled: 1-line block ×4, first 2 shown]
	v_fma_f64 v[18:19], v[107:108], s[22:23], -v[18:19]
	v_fma_f64 v[145:146], v[87:88], s[16:17], v[141:142]
	v_add_f64 v[6:7], v[6:7], v[2:3]
	v_add_f64 v[10:11], v[24:25], v[10:11]
	;; [unrolled: 1-line block ×6, first 2 shown]
	v_fma_f64 v[12:13], v[69:70], s[44:45], v[133:134]
	v_mul_f64 v[14:15], v[101:102], s[30:31]
	v_add_f64 v[16:17], v[18:19], v[6:7]
	v_add_f64 v[6:7], v[145:146], v[10:11]
	v_fma_f64 v[10:11], v[71:72], s[14:15], v[143:144]
	v_mul_f64 v[18:19], v[75:76], s[42:43]
	v_fma_f64 v[125:126], v[109:110], s[36:37], v[125:126]
	v_fma_f64 v[127:128], v[113:114], s[16:17], -v[127:128]
	v_fma_f64 v[129:130], v[85:86], s[24:25], v[129:130]
	v_add_f64 v[8:9], v[12:13], v[8:9]
	v_fma_f64 v[12:13], v[95:96], s[28:29], v[14:15]
	v_mul_f64 v[137:138], v[119:120], s[4:5]
	v_add_f64 v[10:11], v[10:11], v[6:7]
	v_fma_f64 v[139:140], v[93:94], s[30:31], v[18:19]
	v_add_f64 v[6:7], v[125:126], v[4:5]
	v_mul_f64 v[125:126], v[111:112], s[38:39]
	v_add_f64 v[4:5], v[127:128], v[16:17]
	v_fma_f64 v[16:17], v[83:84], s[36:37], v[131:132]
	v_add_f64 v[127:128], v[26:27], v[129:130]
	v_add_f64 v[8:9], v[12:13], v[8:9]
	v_fma_f64 v[12:13], v[103:104], s[6:7], v[137:138]
	v_add_f64 v[10:11], v[139:140], v[10:11]
	v_fma_f64 v[129:130], v[91:92], s[26:27], -v[135:136]
	v_fma_f64 v[131:132], v[107:108], s[4:5], v[125:126]
	v_mul_f64 v[135:136], v[115:116], s[22:23]
	v_mul_f64 v[139:140], v[117:118], s[20:21]
	v_add_f64 v[16:17], v[16:17], v[127:128]
	v_fma_f64 v[127:128], v[69:70], s[8:9], v[133:134]
	v_add_f64 v[8:9], v[12:13], v[8:9]
	v_fma_f64 v[12:13], v[87:88], s[16:17], -v[141:142]
	v_add_f64 v[129:130], v[24:25], v[129:130]
	v_add_f64 v[131:132], v[131:132], v[10:11]
	v_fma_f64 v[10:11], v[109:110], s[40:41], v[135:136]
	v_mul_f64 v[133:134], v[121:122], s[22:23]
	v_fma_f64 v[141:142], v[113:114], s[22:23], v[139:140]
	v_add_f64 v[16:17], v[127:128], v[16:17]
	v_fma_f64 v[14:15], v[95:96], s[42:43], v[14:15]
	v_mul_f64 v[127:128], v[99:100], s[20:21]
	v_add_f64 v[12:13], v[12:13], v[129:130]
	v_fma_f64 v[129:130], v[71:72], s[14:15], -v[143:144]
	v_add_f64 v[10:11], v[10:11], v[8:9]
	v_fma_f64 v[143:144], v[85:86], s[40:41], v[133:134]
	v_mul_f64 v[145:146], v[123:124], s[26:27]
	v_add_f64 v[8:9], v[141:142], v[131:132]
	v_add_f64 v[14:15], v[14:15], v[16:17]
	v_fma_f64 v[16:17], v[91:92], s[22:23], v[127:128]
	v_mul_f64 v[131:132], v[97:98], s[34:35]
	v_add_f64 v[12:13], v[129:130], v[12:13]
	v_fma_f64 v[18:19], v[93:94], s[30:31], -v[18:19]
	v_add_f64 v[129:130], v[26:27], v[143:144]
	v_fma_f64 v[141:142], v[83:84], s[24:25], v[145:146]
	v_mul_f64 v[143:144], v[105:106], s[4:5]
	v_fma_f64 v[137:138], v[103:104], s[38:39], v[137:138]
	v_add_f64 v[16:17], v[24:25], v[16:17]
	v_fma_f64 v[147:148], v[87:88], s[26:27], v[131:132]
	v_mul_f64 v[149:150], v[73:74], s[38:39]
	v_add_f64 v[12:13], v[18:19], v[12:13]
	v_fma_f64 v[18:19], v[107:108], s[4:5], -v[125:126]
	v_add_f64 v[125:126], v[141:142], v[129:130]
	v_fma_f64 v[129:130], v[69:70], s[6:7], v[143:144]
	v_mul_f64 v[141:142], v[101:102], s[16:17]
	v_add_f64 v[14:15], v[137:138], v[14:15]
	v_add_f64 v[16:17], v[147:148], v[16:17]
	v_fma_f64 v[137:138], v[71:72], s[4:5], v[149:150]
	v_mul_f64 v[147:148], v[75:76], s[18:19]
	v_add_f64 v[12:13], v[18:19], v[12:13]
	v_fma_f64 v[18:19], v[109:110], s[20:21], v[135:136]
	v_add_f64 v[125:126], v[129:130], v[125:126]
	v_fma_f64 v[129:130], v[95:96], s[36:37], v[141:142]
	v_fma_f64 v[133:134], v[85:86], s[20:21], v[133:134]
	v_mul_f64 v[135:136], v[119:120], s[30:31]
	v_add_f64 v[16:17], v[137:138], v[16:17]
	v_fma_f64 v[137:138], v[93:94], s[16:17], v[147:148]
	v_mul_f64 v[151:152], v[111:112], s[42:43]
	v_add_f64 v[14:15], v[18:19], v[14:15]
	v_fma_f64 v[18:19], v[83:84], s[34:35], v[145:146]
	v_add_f64 v[125:126], v[129:130], v[125:126]
	v_add_f64 v[133:134], v[26:27], v[133:134]
	v_fma_f64 v[129:130], v[103:104], s[28:29], v[135:136]
	v_fma_f64 v[127:128], v[91:92], s[22:23], -v[127:128]
	v_add_f64 v[16:17], v[137:138], v[16:17]
	v_fma_f64 v[137:138], v[107:108], s[30:31], v[151:152]
	v_mul_f64 v[145:146], v[115:116], s[14:15]
	v_fma_f64 v[139:140], v[113:114], s[22:23], -v[139:140]
	v_fma_f64 v[141:142], v[95:96], s[18:19], v[141:142]
	v_add_f64 v[18:19], v[18:19], v[133:134]
	v_fma_f64 v[133:134], v[69:70], s[38:39], v[143:144]
	v_add_f64 v[125:126], v[129:130], v[125:126]
	v_fma_f64 v[129:130], v[87:88], s[26:27], -v[131:132]
	v_add_f64 v[127:128], v[24:25], v[127:128]
	v_add_f64 v[16:17], v[137:138], v[16:17]
	v_fma_f64 v[131:132], v[109:110], s[8:9], v[145:146]
	v_mul_f64 v[137:138], v[121:122], s[16:17]
	v_mul_f64 v[143:144], v[99:100], s[18:19]
	v_add_f64 v[133:134], v[133:134], v[18:19]
	v_mul_f64 v[155:156], v[97:98], s[28:29]
	v_add_f64 v[12:13], v[139:140], v[12:13]
	v_add_f64 v[127:128], v[129:130], v[127:128]
	v_fma_f64 v[129:130], v[71:72], s[4:5], -v[149:150]
	v_add_f64 v[18:19], v[131:132], v[125:126]
	v_fma_f64 v[125:126], v[85:86], s[36:37], v[137:138]
	v_mul_f64 v[131:132], v[123:124], s[30:31]
	v_fma_f64 v[153:154], v[91:92], s[16:17], v[143:144]
	v_mul_f64 v[139:140], v[117:118], s[44:45]
	v_add_f64 v[133:134], v[141:142], v[133:134]
	v_fma_f64 v[157:158], v[87:88], s[30:31], v[155:156]
	v_add_f64 v[127:128], v[129:130], v[127:128]
	v_fma_f64 v[129:130], v[93:94], s[16:17], -v[147:148]
	v_add_f64 v[125:126], v[26:27], v[125:126]
	v_fma_f64 v[141:142], v[83:84], s[42:43], v[131:132]
	v_mul_f64 v[147:148], v[105:106], s[22:23]
	v_add_f64 v[153:154], v[24:25], v[153:154]
	v_mul_f64 v[159:160], v[73:74], s[40:41]
	v_fma_f64 v[149:150], v[113:114], s[14:15], v[139:140]
	v_fma_f64 v[135:136], v[103:104], s[42:43], v[135:136]
	v_add_f64 v[127:128], v[129:130], v[127:128]
	v_fma_f64 v[129:130], v[107:108], s[30:31], -v[151:152]
	v_add_f64 v[125:126], v[141:142], v[125:126]
	v_fma_f64 v[141:142], v[69:70], s[20:21], v[147:148]
	v_mul_f64 v[151:152], v[101:102], s[4:5]
	v_add_f64 v[153:154], v[157:158], v[153:154]
	v_fma_f64 v[157:158], v[71:72], s[22:23], v[159:160]
	v_mul_f64 v[161:162], v[75:76], s[38:39]
	v_add_f64 v[16:17], v[149:150], v[16:17]
	v_add_f64 v[133:134], v[135:136], v[133:134]
	;; [unrolled: 1-line block ×4, first 2 shown]
	v_fma_f64 v[127:128], v[95:96], s[6:7], v[151:152]
	v_mul_f64 v[135:136], v[119:120], s[14:15]
	v_add_f64 v[141:142], v[157:158], v[153:154]
	v_fma_f64 v[149:150], v[93:94], s[4:5], v[161:162]
	v_mul_f64 v[153:154], v[111:112], s[8:9]
	v_fma_f64 v[137:138], v[85:86], s[18:19], v[137:138]
	v_fma_f64 v[145:146], v[109:110], s[44:45], v[145:146]
	v_fma_f64 v[139:140], v[113:114], s[14:15], -v[139:140]
	v_add_f64 v[157:158], v[127:128], v[125:126]
	v_fma_f64 v[163:164], v[103:104], s[44:45], v[135:136]
	v_mul_f64 v[165:166], v[115:116], s[26:27]
	v_add_f64 v[141:142], v[149:150], v[141:142]
	v_fma_f64 v[149:150], v[107:108], s[14:15], v[153:154]
	v_fma_f64 v[131:132], v[83:84], s[28:29], v[131:132]
	v_add_f64 v[137:138], v[26:27], v[137:138]
	v_add_f64 v[127:128], v[145:146], v[133:134]
	;; [unrolled: 1-line block ×4, first 2 shown]
	v_fma_f64 v[133:134], v[109:110], s[34:35], v[165:166]
	v_mul_f64 v[145:146], v[121:122], s[14:15]
	v_add_f64 v[141:142], v[149:150], v[141:142]
	v_fma_f64 v[143:144], v[91:92], s[16:17], -v[143:144]
	v_add_f64 v[137:138], v[131:132], v[137:138]
	v_fma_f64 v[147:148], v[69:70], s[40:41], v[147:148]
	v_mul_f64 v[149:150], v[99:100], s[8:9]
	v_mul_f64 v[157:158], v[123:124], s[22:23]
	v_add_f64 v[131:132], v[133:134], v[129:130]
	v_fma_f64 v[133:134], v[85:86], s[44:45], v[145:146]
	v_fma_f64 v[155:156], v[87:88], s[30:31], -v[155:156]
	v_add_f64 v[143:144], v[24:25], v[143:144]
	v_mul_f64 v[163:164], v[97:98], s[20:21]
	v_add_f64 v[137:138], v[147:148], v[137:138]
	v_fma_f64 v[147:148], v[91:92], s[14:15], v[149:150]
	v_fma_f64 v[151:152], v[95:96], s[38:39], v[151:152]
	;; [unrolled: 1-line block ×3, first 2 shown]
	v_add_f64 v[133:134], v[26:27], v[133:134]
	v_mul_f64 v[169:170], v[105:106], s[30:31]
	v_add_f64 v[143:144], v[155:156], v[143:144]
	v_fma_f64 v[155:156], v[71:72], s[22:23], -v[159:160]
	v_fma_f64 v[159:160], v[87:88], s[22:23], v[163:164]
	v_add_f64 v[147:148], v[24:25], v[147:148]
	v_mul_f64 v[171:172], v[73:74], s[28:29]
	v_add_f64 v[137:138], v[151:152], v[137:138]
	v_add_f64 v[133:134], v[167:168], v[133:134]
	v_fma_f64 v[151:152], v[69:70], s[42:43], v[169:170]
	v_mul_f64 v[167:168], v[101:102], s[26:27]
	v_add_f64 v[143:144], v[155:156], v[143:144]
	v_fma_f64 v[155:156], v[93:94], s[4:5], -v[161:162]
	v_add_f64 v[147:148], v[159:160], v[147:148]
	v_fma_f64 v[159:160], v[71:72], s[30:31], v[171:172]
	v_mul_f64 v[161:162], v[75:76], s[34:35]
	v_mul_f64 v[139:140], v[117:118], s[24:25]
	v_fma_f64 v[135:136], v[103:104], s[8:9], v[135:136]
	v_add_f64 v[133:134], v[151:152], v[133:134]
	v_fma_f64 v[151:152], v[95:96], s[24:25], v[167:168]
	v_mul_f64 v[173:174], v[119:120], s[16:17]
	v_add_f64 v[143:144], v[155:156], v[143:144]
	v_fma_f64 v[153:154], v[107:108], s[14:15], -v[153:154]
	v_add_f64 v[147:148], v[159:160], v[147:148]
	v_fma_f64 v[155:156], v[93:94], s[26:27], v[161:162]
	v_mul_f64 v[159:160], v[111:112], s[36:37]
	v_fma_f64 v[129:130], v[113:114], s[26:27], v[139:140]
	v_add_f64 v[135:136], v[135:136], v[137:138]
	v_add_f64 v[133:134], v[151:152], v[133:134]
	v_fma_f64 v[137:138], v[103:104], s[18:19], v[173:174]
	v_mul_f64 v[151:152], v[115:116], s[4:5]
	v_add_f64 v[143:144], v[153:154], v[143:144]
	v_fma_f64 v[153:154], v[109:110], s[24:25], v[165:166]
	v_add_f64 v[147:148], v[155:156], v[147:148]
	v_fma_f64 v[155:156], v[107:108], s[16:17], v[159:160]
	v_mul_f64 v[165:166], v[117:118], s[38:39]
	v_fma_f64 v[139:140], v[113:114], s[26:27], -v[139:140]
	v_add_f64 v[137:138], v[137:138], v[133:134]
	v_fma_f64 v[175:176], v[109:110], s[6:7], v[151:152]
	v_add_f64 v[129:130], v[129:130], v[141:142]
	v_fma_f64 v[141:142], v[85:86], s[8:9], v[145:146]
	v_mul_f64 v[121:122], v[121:122], s[4:5]
	v_add_f64 v[145:146], v[155:156], v[147:148]
	v_fma_f64 v[147:148], v[91:92], s[14:15], -v[149:150]
	v_fma_f64 v[149:150], v[113:114], s[4:5], v[165:166]
	v_add_f64 v[89:90], v[26:27], v[89:90]
	v_add_f64 v[81:82], v[24:25], v[81:82]
	;; [unrolled: 1-line block ×5, first 2 shown]
	v_fma_f64 v[143:144], v[83:84], s[20:21], v[157:158]
	v_add_f64 v[141:142], v[26:27], v[141:142]
	v_fma_f64 v[153:154], v[87:88], s[22:23], -v[163:164]
	v_add_f64 v[147:148], v[24:25], v[147:148]
	v_add_f64 v[137:138], v[149:150], v[145:146]
	v_fma_f64 v[145:146], v[85:86], s[38:39], v[121:122]
	v_mul_f64 v[123:124], v[123:124], s[14:15]
	v_add_f64 v[77:78], v[77:78], v[89:90]
	v_add_f64 v[79:80], v[79:80], v[81:82]
	;; [unrolled: 1-line block ×3, first 2 shown]
	v_fma_f64 v[143:144], v[69:70], s[28:29], v[169:170]
	v_add_f64 v[147:148], v[153:154], v[147:148]
	v_mul_f64 v[105:106], v[105:106], s[16:17]
	v_add_f64 v[145:146], v[26:27], v[145:146]
	v_fma_f64 v[153:154], v[83:84], s[44:45], v[123:124]
	v_add_f64 v[65:66], v[65:66], v[77:78]
	v_add_f64 v[67:68], v[67:68], v[79:80]
	v_fma_f64 v[81:82], v[95:96], s[34:35], v[167:168]
	v_add_f64 v[141:142], v[143:144], v[141:142]
	v_mul_f64 v[101:102], v[101:102], s[22:23]
	v_fma_f64 v[79:80], v[103:104], s[36:37], v[173:174]
	v_fma_f64 v[85:86], v[85:86], s[6:7], v[121:122]
	v_add_f64 v[143:144], v[153:154], v[145:146]
	v_fma_f64 v[145:146], v[69:70], s[36:37], v[105:106]
	v_add_f64 v[56:57], v[56:57], v[65:66]
	v_add_f64 v[63:64], v[63:64], v[67:68]
	;; [unrolled: 1-line block ×3, first 2 shown]
	v_fma_f64 v[141:142], v[95:96], s[40:41], v[101:102]
	v_mul_f64 v[65:66], v[99:100], s[6:7]
	v_mul_f64 v[67:68], v[119:120], s[26:27]
	v_add_f64 v[26:27], v[26:27], v[85:86]
	v_add_f64 v[81:82], v[145:146], v[143:144]
	;; [unrolled: 1-line block ×5, first 2 shown]
	v_mul_f64 v[75:76], v[75:76], s[20:21]
	v_fma_f64 v[56:57], v[91:92], s[4:5], v[65:66]
	v_fma_f64 v[63:64], v[103:104], s[34:35], v[67:68]
	v_fma_f64 v[65:66], v[91:92], s[4:5], -v[65:66]
	v_add_f64 v[79:80], v[141:142], v[81:82]
	v_mul_f64 v[81:82], v[97:98], s[8:9]
	v_add_f64 v[48:49], v[48:49], v[52:53]
	v_add_f64 v[50:51], v[50:51], v[54:55]
	v_fma_f64 v[149:150], v[71:72], s[30:31], -v[171:172]
	v_add_f64 v[52:53], v[24:25], v[56:57]
	v_fma_f64 v[56:57], v[83:84], s[8:9], v[123:124]
	v_add_f64 v[24:25], v[24:25], v[65:66]
	v_add_f64 v[54:55], v[63:64], v[79:80]
	v_fma_f64 v[91:92], v[87:88], s[14:15], v[81:82]
	v_add_f64 v[46:47], v[46:47], v[48:49]
	v_add_f64 v[44:45], v[44:45], v[50:51]
	v_mul_f64 v[50:51], v[73:74], s[18:19]
	v_fma_f64 v[63:64], v[87:88], s[14:15], -v[81:82]
	v_add_f64 v[26:27], v[56:57], v[26:27]
	v_mul_f64 v[81:82], v[111:112], s[24:25]
	v_add_f64 v[89:90], v[149:150], v[147:148]
	v_add_f64 v[48:49], v[91:92], v[52:53]
	v_fma_f64 v[52:53], v[69:70], s[18:19], v[105:106]
	v_add_f64 v[36:37], v[36:37], v[46:47]
	v_fma_f64 v[56:57], v[71:72], s[16:17], v[50:51]
	v_add_f64 v[38:39], v[38:39], v[44:45]
	v_fma_f64 v[50:51], v[71:72], s[16:17], -v[50:51]
	v_add_f64 v[24:25], v[63:64], v[24:25]
	v_fma_f64 v[44:45], v[93:94], s[22:23], v[75:76]
	v_fma_f64 v[147:148], v[93:94], s[26:27], -v[161:162]
	v_add_f64 v[26:27], v[52:53], v[26:27]
	v_add_f64 v[32:33], v[32:33], v[36:37]
	;; [unrolled: 1-line block ×3, first 2 shown]
	v_fma_f64 v[48:49], v[95:96], s[20:21], v[101:102]
	v_add_f64 v[34:35], v[34:35], v[38:39]
	v_fma_f64 v[52:53], v[93:94], s[22:23], -v[75:76]
	v_add_f64 v[24:25], v[50:51], v[24:25]
	v_mul_f64 v[65:66], v[115:116], s[30:31]
	v_mul_f64 v[79:80], v[117:118], s[28:29]
	v_fma_f64 v[36:37], v[107:108], s[26:27], v[81:82]
	v_add_f64 v[38:39], v[44:45], v[46:47]
	v_fma_f64 v[44:45], v[103:104], s[24:25], v[67:68]
	v_add_f64 v[26:27], v[48:49], v[26:27]
	v_add_f64 v[28:29], v[28:29], v[32:33]
	;; [unrolled: 1-line block ×3, first 2 shown]
	v_fma_f64 v[46:47], v[107:108], s[26:27], -v[81:82]
	v_add_f64 v[24:25], v[52:53], v[24:25]
	v_add_f64 v[89:90], v[147:148], v[89:90]
	v_fma_f64 v[99:100], v[107:108], s[16:17], -v[159:160]
	v_fma_f64 v[34:35], v[113:114], s[30:31], v[79:80]
	v_add_f64 v[36:37], v[36:37], v[38:39]
	v_fma_f64 v[38:39], v[109:110], s[28:29], v[65:66]
	v_add_f64 v[40:41], v[44:45], v[26:27]
	v_add_f64 v[48:49], v[30:31], v[28:29]
	;; [unrolled: 1-line block ×3, first 2 shown]
	v_mul_lo_u32 v155, s3, v60
	v_mul_lo_u32 v156, s2, v61
	v_mad_u64_u32 v[60:61], s[0:1], s2, v60, 0
	v_fma_f64 v[44:45], v[113:114], s[30:31], -v[79:80]
	v_add_f64 v[46:47], v[46:47], v[24:25]
	v_add_f64 v[89:90], v[99:100], v[89:90]
	v_fma_f64 v[69:70], v[109:110], s[38:39], v[151:152]
	v_fma_f64 v[73:74], v[113:114], s[4:5], -v[165:166]
	v_add3_u32 v61, v61, v156, v155
	v_add_f64 v[28:29], v[34:35], v[36:37]
	v_add_f64 v[34:35], v[38:39], v[40:41]
	;; [unrolled: 1-line block ×3, first 2 shown]
	v_lshlrev_b64 v[20:21], 4, v[60:61]
	v_fma_f64 v[71:72], v[109:110], s[42:43], v[65:66]
	v_add_f64 v[36:37], v[22:23], v[42:43]
	v_mov_b32_e32 v22, s11
	v_add_co_u32_e32 v23, vcc, s10, v20
	v_addc_co_u32_e32 v22, vcc, v22, v21, vcc
	v_lshlrev_b64 v[20:21], 4, v[58:59]
	v_add_f64 v[32:33], v[44:45], v[46:47]
	v_mov_b32_e32 v63, 0
	v_add_co_u32_e32 v23, vcc, v23, v20
	v_add_f64 v[26:27], v[69:70], v[77:78]
	v_add_f64 v[24:25], v[73:74], v[89:90]
	v_addc_co_u32_e32 v22, vcc, v22, v21, vcc
	v_lshlrev_b64 v[20:21], 4, v[62:63]
	s_movk_i32 s0, 0x1000
	v_add_co_u32_e32 v20, vcc, v23, v20
	v_addc_co_u32_e32 v21, vcc, v22, v21, vcc
	v_add_f64 v[30:31], v[71:72], v[54:55]
	v_add_co_u32_e32 v22, vcc, s0, v20
	v_addc_co_u32_e32 v23, vcc, 0, v21, vcc
	s_movk_i32 s0, 0x2000
	global_store_dwordx4 v[20:21], v[36:39], off
	global_store_dwordx4 v[20:21], v[32:35], off offset:1456
	global_store_dwordx4 v[20:21], v[24:27], off offset:2912
	;; [unrolled: 1-line block ×5, first 2 shown]
	s_nop 0
	v_add_co_u32_e32 v12, vcc, s0, v20
	v_addc_co_u32_e32 v13, vcc, 0, v21, vcc
	s_movk_i32 s0, 0x3000
	global_store_dwordx4 v[12:13], v[4:7], off offset:544
	global_store_dwordx4 v[12:13], v[0:3], off offset:2000
	;; [unrolled: 1-line block ×3, first 2 shown]
	v_add_co_u32_e32 v0, vcc, s0, v20
	v_addc_co_u32_e32 v1, vcc, 0, v21, vcc
	global_store_dwordx4 v[0:1], v[16:19], off offset:816
	global_store_dwordx4 v[0:1], v[129:132], off offset:2272
	;; [unrolled: 1-line block ×3, first 2 shown]
	v_add_co_u32_e32 v0, vcc, 0x4000, v20
	v_addc_co_u32_e32 v1, vcc, 0, v21, vcc
	global_store_dwordx4 v[0:1], v[28:31], off offset:1088
.LBB0_21:
	s_endpgm
	.section	.rodata,"a",@progbits
	.p2align	6, 0x0
	.amdhsa_kernel fft_rtc_fwd_len1183_factors_7_13_13_wgs_182_tpt_91_halfLds_dp_op_CI_CI_unitstride_sbrr_dirReg
		.amdhsa_group_segment_fixed_size 0
		.amdhsa_private_segment_fixed_size 0
		.amdhsa_kernarg_size 104
		.amdhsa_user_sgpr_count 6
		.amdhsa_user_sgpr_private_segment_buffer 1
		.amdhsa_user_sgpr_dispatch_ptr 0
		.amdhsa_user_sgpr_queue_ptr 0
		.amdhsa_user_sgpr_kernarg_segment_ptr 1
		.amdhsa_user_sgpr_dispatch_id 0
		.amdhsa_user_sgpr_flat_scratch_init 0
		.amdhsa_user_sgpr_private_segment_size 0
		.amdhsa_uses_dynamic_stack 0
		.amdhsa_system_sgpr_private_segment_wavefront_offset 0
		.amdhsa_system_sgpr_workgroup_id_x 1
		.amdhsa_system_sgpr_workgroup_id_y 0
		.amdhsa_system_sgpr_workgroup_id_z 0
		.amdhsa_system_sgpr_workgroup_info 0
		.amdhsa_system_vgpr_workitem_id 0
		.amdhsa_next_free_vgpr 177
		.amdhsa_next_free_sgpr 48
		.amdhsa_reserve_vcc 1
		.amdhsa_reserve_flat_scratch 0
		.amdhsa_float_round_mode_32 0
		.amdhsa_float_round_mode_16_64 0
		.amdhsa_float_denorm_mode_32 3
		.amdhsa_float_denorm_mode_16_64 3
		.amdhsa_dx10_clamp 1
		.amdhsa_ieee_mode 1
		.amdhsa_fp16_overflow 0
		.amdhsa_exception_fp_ieee_invalid_op 0
		.amdhsa_exception_fp_denorm_src 0
		.amdhsa_exception_fp_ieee_div_zero 0
		.amdhsa_exception_fp_ieee_overflow 0
		.amdhsa_exception_fp_ieee_underflow 0
		.amdhsa_exception_fp_ieee_inexact 0
		.amdhsa_exception_int_div_zero 0
	.end_amdhsa_kernel
	.text
.Lfunc_end0:
	.size	fft_rtc_fwd_len1183_factors_7_13_13_wgs_182_tpt_91_halfLds_dp_op_CI_CI_unitstride_sbrr_dirReg, .Lfunc_end0-fft_rtc_fwd_len1183_factors_7_13_13_wgs_182_tpt_91_halfLds_dp_op_CI_CI_unitstride_sbrr_dirReg
                                        ; -- End function
	.section	.AMDGPU.csdata,"",@progbits
; Kernel info:
; codeLenInByte = 11988
; NumSgprs: 52
; NumVgprs: 177
; ScratchSize: 0
; MemoryBound: 1
; FloatMode: 240
; IeeeMode: 1
; LDSByteSize: 0 bytes/workgroup (compile time only)
; SGPRBlocks: 6
; VGPRBlocks: 44
; NumSGPRsForWavesPerEU: 52
; NumVGPRsForWavesPerEU: 177
; Occupancy: 1
; WaveLimiterHint : 1
; COMPUTE_PGM_RSRC2:SCRATCH_EN: 0
; COMPUTE_PGM_RSRC2:USER_SGPR: 6
; COMPUTE_PGM_RSRC2:TRAP_HANDLER: 0
; COMPUTE_PGM_RSRC2:TGID_X_EN: 1
; COMPUTE_PGM_RSRC2:TGID_Y_EN: 0
; COMPUTE_PGM_RSRC2:TGID_Z_EN: 0
; COMPUTE_PGM_RSRC2:TIDIG_COMP_CNT: 0
	.type	__hip_cuid_9f18cc558351a361,@object ; @__hip_cuid_9f18cc558351a361
	.section	.bss,"aw",@nobits
	.globl	__hip_cuid_9f18cc558351a361
__hip_cuid_9f18cc558351a361:
	.byte	0                               ; 0x0
	.size	__hip_cuid_9f18cc558351a361, 1

	.ident	"AMD clang version 19.0.0git (https://github.com/RadeonOpenCompute/llvm-project roc-6.4.0 25133 c7fe45cf4b819c5991fe208aaa96edf142730f1d)"
	.section	".note.GNU-stack","",@progbits
	.addrsig
	.addrsig_sym __hip_cuid_9f18cc558351a361
	.amdgpu_metadata
---
amdhsa.kernels:
  - .args:
      - .actual_access:  read_only
        .address_space:  global
        .offset:         0
        .size:           8
        .value_kind:     global_buffer
      - .offset:         8
        .size:           8
        .value_kind:     by_value
      - .actual_access:  read_only
        .address_space:  global
        .offset:         16
        .size:           8
        .value_kind:     global_buffer
      - .actual_access:  read_only
        .address_space:  global
        .offset:         24
        .size:           8
        .value_kind:     global_buffer
      - .actual_access:  read_only
        .address_space:  global
        .offset:         32
        .size:           8
        .value_kind:     global_buffer
      - .offset:         40
        .size:           8
        .value_kind:     by_value
      - .actual_access:  read_only
        .address_space:  global
        .offset:         48
        .size:           8
        .value_kind:     global_buffer
      - .actual_access:  read_only
        .address_space:  global
        .offset:         56
        .size:           8
        .value_kind:     global_buffer
      - .offset:         64
        .size:           4
        .value_kind:     by_value
      - .actual_access:  read_only
        .address_space:  global
        .offset:         72
        .size:           8
        .value_kind:     global_buffer
      - .actual_access:  read_only
        .address_space:  global
        .offset:         80
        .size:           8
        .value_kind:     global_buffer
      - .actual_access:  read_only
        .address_space:  global
        .offset:         88
        .size:           8
        .value_kind:     global_buffer
      - .actual_access:  write_only
        .address_space:  global
        .offset:         96
        .size:           8
        .value_kind:     global_buffer
    .group_segment_fixed_size: 0
    .kernarg_segment_align: 8
    .kernarg_segment_size: 104
    .language:       OpenCL C
    .language_version:
      - 2
      - 0
    .max_flat_workgroup_size: 182
    .name:           fft_rtc_fwd_len1183_factors_7_13_13_wgs_182_tpt_91_halfLds_dp_op_CI_CI_unitstride_sbrr_dirReg
    .private_segment_fixed_size: 0
    .sgpr_count:     52
    .sgpr_spill_count: 0
    .symbol:         fft_rtc_fwd_len1183_factors_7_13_13_wgs_182_tpt_91_halfLds_dp_op_CI_CI_unitstride_sbrr_dirReg.kd
    .uniform_work_group_size: 1
    .uses_dynamic_stack: false
    .vgpr_count:     177
    .vgpr_spill_count: 0
    .wavefront_size: 64
amdhsa.target:   amdgcn-amd-amdhsa--gfx906
amdhsa.version:
  - 1
  - 2
...

	.end_amdgpu_metadata
